;; amdgpu-corpus repo=ROCm/rocFFT kind=compiled arch=gfx906 opt=O3
	.text
	.amdgcn_target "amdgcn-amd-amdhsa--gfx906"
	.amdhsa_code_object_version 6
	.protected	bluestein_single_back_len1452_dim1_half_op_CI_CI ; -- Begin function bluestein_single_back_len1452_dim1_half_op_CI_CI
	.globl	bluestein_single_back_len1452_dim1_half_op_CI_CI
	.p2align	8
	.type	bluestein_single_back_len1452_dim1_half_op_CI_CI,@function
bluestein_single_back_len1452_dim1_half_op_CI_CI: ; @bluestein_single_back_len1452_dim1_half_op_CI_CI
; %bb.0:
	s_load_dwordx4 s[16:19], s[4:5], 0x28
	v_mul_u32_u24_e32 v1, 0x1f1, v0
	v_add_u32_sdwa v17, s6, v1 dst_sel:DWORD dst_unused:UNUSED_PAD src0_sel:DWORD src1_sel:WORD_1
	v_mov_b32_e32 v18, 0
	s_waitcnt lgkmcnt(0)
	v_cmp_gt_u64_e32 vcc, s[16:17], v[17:18]
	s_and_saveexec_b64 s[0:1], vcc
	s_cbranch_execz .LBB0_18
; %bb.1:
	s_load_dwordx4 s[0:3], s[4:5], 0x18
	s_load_dwordx4 s[12:15], s[4:5], 0x0
	s_mov_b32 s20, 0xb853
	s_mov_b32 s16, 0xb93d
	;; [unrolled: 1-line block ×3, first 2 shown]
	s_waitcnt lgkmcnt(0)
	s_load_dwordx4 s[8:11], s[0:1], 0x0
	s_movk_i32 s0, 0x84
	v_mul_lo_u16_sdwa v1, v1, s0 dst_sel:DWORD dst_unused:UNUSED_PAD src0_sel:WORD_1 src1_sel:DWORD
	v_sub_u16_e32 v46, v0, v1
	v_lshlrev_b32_e32 v36, 2, v46
	s_waitcnt lgkmcnt(0)
	v_mad_u64_u32 v[0:1], s[0:1], s10, v17, 0
	v_mad_u64_u32 v[2:3], s[0:1], s8, v46, 0
	s_mul_i32 s6, s9, 0x210
	s_mul_hi_u32 s7, s8, 0x210
	v_mad_u64_u32 v[4:5], s[0:1], s11, v17, v[1:2]
	s_add_i32 s6, s7, s6
	s_mul_i32 s7, s8, 0x210
	v_mad_u64_u32 v[5:6], s[0:1], s9, v46, v[3:4]
	v_mov_b32_e32 v1, v4
	v_lshlrev_b64 v[0:1], 2, v[0:1]
	v_mov_b32_e32 v6, s19
	v_mov_b32_e32 v3, v5
	v_add_co_u32_e32 v4, vcc, s18, v0
	v_addc_co_u32_e32 v5, vcc, v6, v1, vcc
	v_lshlrev_b64 v[0:1], 2, v[2:3]
	v_mov_b32_e32 v2, s13
	v_add_co_u32_e32 v0, vcc, v4, v0
	v_add_co_u32_e64 v49, s[0:1], s12, v36
	v_addc_co_u32_e32 v1, vcc, v5, v1, vcc
	v_addc_co_u32_e64 v4, vcc, 0, v2, s[0:1]
	v_mov_b32_e32 v3, s6
	v_add_co_u32_e32 v2, vcc, s7, v0
	v_addc_co_u32_e32 v3, vcc, v1, v3, vcc
	global_load_dword v5, v[0:1], off
	global_load_dword v6, v[2:3], off
	global_load_dword v48, v36, s[12:13]
	global_load_dword v47, v36, s[12:13] offset:528
	v_mov_b32_e32 v1, s6
	v_add_co_u32_e32 v0, vcc, s7, v2
	v_addc_co_u32_e32 v1, vcc, v3, v1, vcc
	v_mov_b32_e32 v3, s6
	v_add_co_u32_e32 v2, vcc, s7, v0
	v_addc_co_u32_e32 v3, vcc, v1, v3, vcc
	global_load_dword v7, v[0:1], off
	global_load_dword v8, v[2:3], off
	global_load_dword v45, v36, s[12:13] offset:1056
	global_load_dword v44, v36, s[12:13] offset:1584
	v_mov_b32_e32 v1, s6
	v_add_co_u32_e32 v0, vcc, s7, v2
	v_addc_co_u32_e32 v1, vcc, v3, v1, vcc
	global_load_dword v9, v[0:1], off
	v_mov_b32_e32 v2, s6
	v_add_co_u32_e32 v0, vcc, s7, v0
	v_addc_co_u32_e32 v1, vcc, v1, v2, vcc
	global_load_dword v10, v[0:1], off
	global_load_dword v43, v36, s[12:13] offset:2112
	global_load_dword v42, v36, s[12:13] offset:2640
	v_add_co_u32_e32 v0, vcc, s7, v0
	v_addc_co_u32_e32 v1, vcc, v1, v2, vcc
	global_load_dword v11, v[0:1], off
	v_add_co_u32_e32 v0, vcc, s7, v0
	v_addc_co_u32_e32 v1, vcc, v1, v2, vcc
	global_load_dword v12, v[0:1], off
	global_load_dword v41, v36, s[12:13] offset:3168
	global_load_dword v40, v36, s[12:13] offset:3696
	v_add_co_u32_e32 v0, vcc, s7, v0
	v_addc_co_u32_e32 v1, vcc, v1, v2, vcc
	s_movk_i32 s8, 0x1000
	v_add_co_u32_e32 v2, vcc, s8, v49
	global_load_dword v13, v[0:1], off
	v_addc_co_u32_e32 v3, vcc, 0, v4, vcc
	global_load_dword v39, v[2:3], off offset:128
	v_mov_b32_e32 v4, s6
	v_add_co_u32_e32 v0, vcc, s7, v0
	v_addc_co_u32_e32 v1, vcc, v1, v4, vcc
	global_load_dword v14, v[0:1], off
	global_load_dword v38, v[2:3], off offset:656
	v_add_co_u32_e32 v0, vcc, s7, v0
	v_addc_co_u32_e32 v1, vcc, v1, v4, vcc
	global_load_dword v15, v[0:1], off
	global_load_dword v37, v[2:3], off offset:1184
	s_load_dwordx2 s[6:7], s[4:5], 0x38
	s_load_dwordx4 s[8:11], s[2:3], 0x0
	v_add_u32_e32 v4, 0x400, v36
	s_movk_i32 s3, 0x3abb
	s_mov_b32 s2, 0x3abb36a6
	s_mov_b32 s19, 0xffff
	s_movk_i32 s4, 0x36a6
	s_mov_b32 s5, 0xb08e
	s_mov_b32 s12, 0xba0c
	s_movk_i32 s18, 0x3beb
	s_mov_b32 s21, 0xb93db08e
	s_waitcnt vmcnt(21)
	v_lshrrev_b32_e32 v0, 16, v5
	s_waitcnt vmcnt(19)
	v_mul_f16_sdwa v1, v48, v0 dst_sel:DWORD dst_unused:UNUSED_PAD src0_sel:WORD_1 src1_sel:DWORD
	v_mul_f16_sdwa v2, v48, v5 dst_sel:DWORD dst_unused:UNUSED_PAD src0_sel:WORD_1 src1_sel:DWORD
	v_fma_f16 v1, v48, v5, v1
	v_fma_f16 v0, v48, v0, -v2
	v_pack_b32_f16 v0, v1, v0
	v_lshrrev_b32_e32 v1, 16, v6
	s_waitcnt vmcnt(18)
	v_mul_f16_sdwa v2, v47, v1 dst_sel:DWORD dst_unused:UNUSED_PAD src0_sel:WORD_1 src1_sel:DWORD
	v_mul_f16_sdwa v3, v47, v6 dst_sel:DWORD dst_unused:UNUSED_PAD src0_sel:WORD_1 src1_sel:DWORD
	v_fma_f16 v2, v47, v6, v2
	v_fma_f16 v1, v47, v1, -v3
	v_pack_b32_f16 v1, v2, v1
	ds_write2_b32 v36, v0, v1 offset1:132
	s_waitcnt vmcnt(17)
	v_lshrrev_b32_e32 v0, 16, v7
	s_waitcnt vmcnt(15)
	v_mul_f16_sdwa v1, v45, v0 dst_sel:DWORD dst_unused:UNUSED_PAD src0_sel:WORD_1 src1_sel:DWORD
	v_mul_f16_sdwa v2, v45, v7 dst_sel:DWORD dst_unused:UNUSED_PAD src0_sel:WORD_1 src1_sel:DWORD
	v_fma_f16 v1, v45, v7, v1
	v_fma_f16 v0, v45, v0, -v2
	v_pack_b32_f16 v0, v1, v0
	v_lshrrev_b32_e32 v1, 16, v8
	s_waitcnt vmcnt(14)
	v_mul_f16_sdwa v2, v44, v1 dst_sel:DWORD dst_unused:UNUSED_PAD src0_sel:WORD_1 src1_sel:DWORD
	v_mul_f16_sdwa v3, v44, v8 dst_sel:DWORD dst_unused:UNUSED_PAD src0_sel:WORD_1 src1_sel:DWORD
	v_fma_f16 v2, v44, v8, v2
	v_fma_f16 v1, v44, v1, -v3
	v_pack_b32_f16 v1, v2, v1
	ds_write2_b32 v4, v0, v1 offset0:8 offset1:140
	s_waitcnt vmcnt(13)
	v_lshrrev_b32_e32 v0, 16, v9
	s_waitcnt vmcnt(11)
	v_mul_f16_sdwa v1, v43, v0 dst_sel:DWORD dst_unused:UNUSED_PAD src0_sel:WORD_1 src1_sel:DWORD
	v_mul_f16_sdwa v2, v43, v9 dst_sel:DWORD dst_unused:UNUSED_PAD src0_sel:WORD_1 src1_sel:DWORD
	v_fma_f16 v1, v43, v9, v1
	v_fma_f16 v0, v43, v0, -v2
	v_pack_b32_f16 v0, v1, v0
	v_lshrrev_b32_e32 v1, 16, v10
	s_waitcnt vmcnt(10)
	v_mul_f16_sdwa v2, v42, v1 dst_sel:DWORD dst_unused:UNUSED_PAD src0_sel:WORD_1 src1_sel:DWORD
	v_mul_f16_sdwa v3, v42, v10 dst_sel:DWORD dst_unused:UNUSED_PAD src0_sel:WORD_1 src1_sel:DWORD
	v_fma_f16 v2, v42, v10, v2
	v_fma_f16 v1, v42, v1, -v3
	v_pack_b32_f16 v1, v2, v1
	v_add_u32_e32 v5, 0x800, v36
	ds_write2_b32 v5, v0, v1 offset0:16 offset1:148
	s_waitcnt vmcnt(9)
	v_lshrrev_b32_e32 v0, 16, v11
	s_waitcnt vmcnt(7)
	v_mul_f16_sdwa v1, v41, v0 dst_sel:DWORD dst_unused:UNUSED_PAD src0_sel:WORD_1 src1_sel:DWORD
	v_mul_f16_sdwa v2, v41, v11 dst_sel:DWORD dst_unused:UNUSED_PAD src0_sel:WORD_1 src1_sel:DWORD
	v_fma_f16 v1, v41, v11, v1
	v_fma_f16 v0, v41, v0, -v2
	v_pack_b32_f16 v0, v1, v0
	v_lshrrev_b32_e32 v1, 16, v12
	s_waitcnt vmcnt(6)
	v_mul_f16_sdwa v2, v40, v1 dst_sel:DWORD dst_unused:UNUSED_PAD src0_sel:WORD_1 src1_sel:DWORD
	v_mul_f16_sdwa v3, v40, v12 dst_sel:DWORD dst_unused:UNUSED_PAD src0_sel:WORD_1 src1_sel:DWORD
	v_fma_f16 v2, v40, v12, v2
	v_fma_f16 v1, v40, v1, -v3
	v_pack_b32_f16 v1, v2, v1
	v_add_u32_e32 v2, 0xc00, v36
	ds_write2_b32 v2, v0, v1 offset0:24 offset1:156
	s_waitcnt vmcnt(5)
	v_lshrrev_b32_e32 v0, 16, v13
	s_waitcnt vmcnt(4)
	v_mul_f16_sdwa v1, v39, v0 dst_sel:DWORD dst_unused:UNUSED_PAD src0_sel:WORD_1 src1_sel:DWORD
	v_mul_f16_sdwa v3, v39, v13 dst_sel:DWORD dst_unused:UNUSED_PAD src0_sel:WORD_1 src1_sel:DWORD
	v_fma_f16 v1, v39, v13, v1
	v_fma_f16 v0, v39, v0, -v3
	v_pack_b32_f16 v0, v1, v0
	s_waitcnt vmcnt(3)
	v_lshrrev_b32_e32 v1, 16, v14
	s_waitcnt vmcnt(2)
	v_mul_f16_sdwa v3, v38, v1 dst_sel:DWORD dst_unused:UNUSED_PAD src0_sel:WORD_1 src1_sel:DWORD
	v_mul_f16_sdwa v6, v38, v14 dst_sel:DWORD dst_unused:UNUSED_PAD src0_sel:WORD_1 src1_sel:DWORD
	v_fma_f16 v3, v38, v14, v3
	v_fma_f16 v1, v38, v1, -v6
	v_pack_b32_f16 v1, v3, v1
	v_add_u32_e32 v3, 0x1000, v36
	ds_write2_b32 v3, v0, v1 offset0:32 offset1:164
	s_waitcnt vmcnt(1)
	v_lshrrev_b32_e32 v0, 16, v15
	s_waitcnt vmcnt(0)
	v_mul_f16_sdwa v1, v37, v0 dst_sel:DWORD dst_unused:UNUSED_PAD src0_sel:WORD_1 src1_sel:DWORD
	v_mul_f16_sdwa v6, v37, v15 dst_sel:DWORD dst_unused:UNUSED_PAD src0_sel:WORD_1 src1_sel:DWORD
	v_fma_f16 v1, v37, v15, v1
	v_fma_f16 v0, v37, v0, -v6
	v_pack_b32_f16 v0, v1, v0
	ds_write_b32 v36, v0 offset:5280
	v_mul_lo_u16_e32 v0, 11, v46
	s_waitcnt lgkmcnt(0)
	s_barrier
	v_lshlrev_b32_e32 v50, 2, v0
	ds_read2_b32 v[0:1], v36 offset1:132
	ds_read2_b32 v[8:9], v4 offset0:8 offset1:140
	ds_read2_b32 v[12:13], v5 offset0:16 offset1:148
	;; [unrolled: 1-line block ×4, first 2 shown]
	ds_read_b32 v2, v36 offset:5280
	s_waitcnt lgkmcnt(5)
	v_pk_add_f16 v3, v0, v1
	s_waitcnt lgkmcnt(4)
	v_pk_add_f16 v3, v3, v8
	v_pk_add_f16 v3, v3, v9
	s_waitcnt lgkmcnt(3)
	v_pk_add_f16 v3, v3, v12
	;; [unrolled: 3-line block ×5, first 2 shown]
	s_barrier
	ds_write_b32 v50, v3
	v_pk_add_f16 v3, v2, v1
	v_pk_add_f16 v2, v1, v2 neg_lo:[0,1] neg_hi:[0,1]
	v_mul_f16_sdwa v1, v2, s20 dst_sel:DWORD dst_unused:UNUSED_PAD src0_sel:WORD_1 src1_sel:DWORD
	v_fma_f16 v6, v3, s3, -v1
	v_add_f16_e32 v16, v0, v6
	v_pk_mul_f16 v6, v3, s2
	s_mov_b32 s2, 0xbb47b853
	v_pk_fma_f16 v19, v2, s2, v6 op_sel:[0,0,1] op_sel_hi:[1,1,0] neg_lo:[1,0,0] neg_hi:[1,0,0]
	v_pk_fma_f16 v20, v2, s2, v6 op_sel:[0,0,1] op_sel_hi:[1,1,0]
	v_bfi_b32 v6, s19, v20, v19
	v_pk_add_f16 v21, v0, v6 op_sel:[1,0] op_sel_hi:[0,1]
	v_lshrrev_b32_e32 v6, 16, v3
	v_mul_f16_e32 v7, 0xbb47, v2
	v_fma_f16 v22, v6, s4, v7
	v_fma_f16 v7, v6, s4, -v7
	s_mov_b32 s2, 0xbbeb
	v_add_f16_sdwa v23, v0, v7 dst_sel:DWORD dst_unused:UNUSED_PAD src0_sel:WORD_1 src1_sel:DWORD
	v_mul_f16_sdwa v7, v2, s2 dst_sel:DWORD dst_unused:UNUSED_PAD src0_sel:WORD_1 src1_sel:DWORD
	v_fma_f16 v24, v3, s5, -v7
	v_mul_f16_e32 v25, 0xbbeb, v2
	v_fma_f16 v7, v3, s5, v7
	v_add_f16_e32 v27, v0, v7
	v_fma_f16 v7, v6, s5, -v25
	v_mul_f16_e32 v29, 0xba0c, v2
	v_fma_f16 v26, v6, s5, v25
	v_add_f16_sdwa v25, v0, v7 dst_sel:DWORD dst_unused:UNUSED_PAD src0_sel:WORD_1 src1_sel:DWORD
	v_mul_f16_sdwa v7, v2, s12 dst_sel:DWORD dst_unused:UNUSED_PAD src0_sel:WORD_1 src1_sel:DWORD
	v_fma_f16 v30, v6, s16, v29
	v_fma_f16 v6, v6, s16, -v29
	v_fma_f16 v28, v3, s16, -v7
	v_fma_f16 v7, v3, s16, v7
	v_add_f16_sdwa v29, v0, v6 dst_sel:DWORD dst_unused:UNUSED_PAD src0_sel:WORD_1 src1_sel:DWORD
	v_pk_add_f16 v6, v8, v11 neg_lo:[0,1] neg_hi:[0,1]
	v_fma_f16 v1, v3, s3, v1
	v_add_f16_e32 v31, v0, v7
	v_pk_add_f16 v7, v11, v8
	v_mul_f16_sdwa v8, v6, s17 dst_sel:DWORD dst_unused:UNUSED_PAD src0_sel:WORD_1 src1_sel:DWORD
	v_add_f16_e32 v18, v0, v1
	v_fma_f16 v11, v7, s4, -v8
	v_fma_f16 v8, v7, s4, v8
	s_mov_b32 s17, 0x36a6b93d
	v_add_f16_e32 v18, v8, v18
	v_pk_mul_f16 v8, v7, s17
	s_mov_b32 s17, 0xba0cbb47
	v_pk_fma_f16 v32, v6, s17, v8 op_sel:[0,0,1] op_sel_hi:[1,1,0] neg_lo:[1,0,0] neg_hi:[1,0,0]
	v_pk_fma_f16 v33, v6, s17, v8 op_sel:[0,0,1] op_sel_hi:[1,1,0]
	v_bfi_b32 v8, s19, v33, v32
	v_add_f16_e32 v16, v11, v16
	v_pk_add_f16 v21, v8, v21
	v_lshrrev_b32_e32 v8, 16, v7
	v_mul_f16_e32 v11, 0xba0c, v6
	v_fma_f16 v34, v8, s16, v11
	v_fma_f16 v11, v8, s16, -v11
	s_movk_i32 s17, 0x3482
	v_add_f16_sdwa v22, v0, v22 dst_sel:DWORD dst_unused:UNUSED_PAD src0_sel:WORD_1 src1_sel:DWORD
	v_add_f16_e32 v23, v11, v23
	v_mul_f16_sdwa v11, v6, s17 dst_sel:DWORD dst_unused:UNUSED_PAD src0_sel:WORD_1 src1_sel:DWORD
	s_mov_b32 s17, 0xbbad
	v_add_f16_e32 v24, v0, v24
	v_add_f16_e32 v22, v34, v22
	v_fma_f16 v34, v7, s17, -v11
	v_add_f16_e32 v24, v34, v24
	v_mul_f16_e32 v34, 0x3482, v6
	v_fma_f16 v11, v7, s17, v11
	v_add_f16_e32 v27, v11, v27
	v_fma_f16 v11, v8, s17, -v34
	v_add_f16_e32 v25, v11, v25
	v_mul_f16_sdwa v11, v6, s18 dst_sel:DWORD dst_unused:UNUSED_PAD src0_sel:WORD_1 src1_sel:DWORD
	v_add_f16_e32 v28, v0, v28
	v_fma_f16 v35, v8, s17, v34
	v_fma_f16 v34, v7, s5, -v11
	v_add_f16_sdwa v26, v0, v26 dst_sel:DWORD dst_unused:UNUSED_PAD src0_sel:WORD_1 src1_sel:DWORD
	v_add_f16_e32 v28, v34, v28
	v_mul_f16_e32 v34, 0x3beb, v6
	v_add_f16_e32 v26, v35, v26
	v_fma_f16 v35, v8, s5, v34
	v_fma_f16 v8, v8, s5, -v34
	v_fma_f16 v11, v7, s5, v11
	v_add_f16_e32 v29, v8, v29
	v_pk_add_f16 v8, v9, v10 neg_lo:[0,1] neg_hi:[0,1]
	v_add_f16_e32 v31, v11, v31
	v_pk_add_f16 v11, v10, v9
	v_mul_f16_sdwa v9, v8, s2 dst_sel:DWORD dst_unused:UNUSED_PAD src0_sel:WORD_1 src1_sel:DWORD
	v_fma_f16 v10, v11, s5, -v9
	s_mov_b32 s18, 0xb08ebbad
	v_add_f16_e32 v10, v10, v16
	v_fma_f16 v9, v11, s5, v9
	v_pk_mul_f16 v16, v11, s18
	s_mov_b32 s18, 0x3482bbeb
	v_add_f16_e32 v9, v9, v18
	v_pk_fma_f16 v18, v8, s18, v16 op_sel:[0,0,1] op_sel_hi:[1,1,0] neg_lo:[1,0,0] neg_hi:[1,0,0]
	v_pk_fma_f16 v16, v8, s18, v16 op_sel:[0,0,1] op_sel_hi:[1,1,0]
	v_add_f16_sdwa v30, v0, v30 dst_sel:DWORD dst_unused:UNUSED_PAD src0_sel:WORD_1 src1_sel:DWORD
	v_bfi_b32 v34, s19, v16, v18
	v_add_f16_e32 v30, v35, v30
	v_pk_add_f16 v21, v34, v21
	v_lshrrev_b32_e32 v34, 16, v11
	v_mul_f16_e32 v35, 0x3482, v8
	v_fma_f16 v51, v34, s17, v35
	v_fma_f16 v35, v34, s17, -v35
	s_movk_i32 s18, 0x3b47
	v_add_f16_e32 v23, v35, v23
	v_mul_f16_sdwa v35, v8, s18 dst_sel:DWORD dst_unused:UNUSED_PAD src0_sel:WORD_1 src1_sel:DWORD
	v_add_f16_e32 v22, v51, v22
	v_fma_f16 v51, v11, s4, -v35
	v_add_f16_e32 v24, v51, v24
	v_mul_f16_e32 v51, 0x3b47, v8
	v_fma_f16 v35, v11, s4, v35
	v_add_f16_e32 v27, v35, v27
	v_fma_f16 v35, v34, s4, -v51
	v_add_f16_e32 v25, v35, v25
	v_mul_f16_sdwa v35, v8, s20 dst_sel:DWORD dst_unused:UNUSED_PAD src0_sel:WORD_1 src1_sel:DWORD
	v_fma_f16 v52, v34, s4, v51
	v_fma_f16 v51, v11, s3, -v35
	v_add_f16_e32 v28, v51, v28
	v_mul_f16_e32 v51, 0xb853, v8
	v_add_f16_e32 v26, v52, v26
	v_fma_f16 v52, v34, s3, v51
	v_fma_f16 v34, v34, s3, -v51
	v_add_f16_e32 v29, v34, v29
	v_pk_add_f16 v34, v15, v12
	v_pk_add_f16 v15, v12, v15 neg_lo:[0,1] neg_hi:[0,1]
	v_fma_f16 v35, v11, s3, v35
	v_mul_f16_sdwa v12, v15, s12 dst_sel:DWORD dst_unused:UNUSED_PAD src0_sel:WORD_1 src1_sel:DWORD
	v_add_f16_e32 v31, v35, v31
	v_fma_f16 v35, v34, s16, -v12
	v_fma_f16 v12, v34, s16, v12
	v_add_f16_e32 v9, v12, v9
	v_pk_mul_f16 v12, v34, s21
	s_mov_b32 s21, 0x3bebba0c
	v_add_f16_e32 v10, v35, v10
	v_pk_fma_f16 v35, v15, s21, v12 op_sel:[0,0,1] op_sel_hi:[1,1,0] neg_lo:[1,0,0] neg_hi:[1,0,0]
	v_pk_fma_f16 v51, v15, s21, v12 op_sel:[0,0,1] op_sel_hi:[1,1,0]
	v_bfi_b32 v12, s19, v51, v35
	v_add_f16_e32 v30, v52, v30
	v_pk_add_f16 v21, v12, v21
	v_lshrrev_b32_e32 v12, 16, v34
	v_mul_f16_e32 v52, 0x3beb, v15
	v_fma_f16 v53, v12, s5, v52
	v_fma_f16 v52, v12, s5, -v52
	v_add_f16_e32 v23, v52, v23
	v_mul_f16_sdwa v52, v15, s20 dst_sel:DWORD dst_unused:UNUSED_PAD src0_sel:WORD_1 src1_sel:DWORD
	v_add_f16_e32 v22, v53, v22
	v_fma_f16 v53, v34, s3, -v52
	v_add_f16_e32 v24, v53, v24
	v_mul_f16_e32 v53, 0xb853, v15
	v_fma_f16 v52, v34, s3, v52
	v_add_f16_e32 v27, v52, v27
	v_fma_f16 v52, v12, s3, -v53
	s_mov_b32 s20, 0xb482
	v_add_f16_e32 v25, v52, v25
	v_mul_f16_sdwa v52, v15, s20 dst_sel:DWORD dst_unused:UNUSED_PAD src0_sel:WORD_1 src1_sel:DWORD
	v_fma_f16 v54, v12, s3, v53
	v_fma_f16 v53, v34, s17, -v52
	v_add_f16_e32 v28, v53, v28
	v_mul_f16_e32 v53, 0xb482, v15
	v_fma_f16 v52, v34, s17, v52
	v_add_f16_e32 v26, v54, v26
	v_fma_f16 v54, v12, s17, v53
	v_add_f16_e32 v31, v52, v31
	v_fma_f16 v12, v12, s17, -v53
	v_pk_add_f16 v52, v14, v13
	v_pk_add_f16 v14, v13, v14 neg_lo:[0,1] neg_hi:[0,1]
	v_add_f16_e32 v29, v12, v29
	v_mul_f16_sdwa v12, v14, s20 dst_sel:DWORD dst_unused:UNUSED_PAD src0_sel:WORD_1 src1_sel:DWORD
	v_fma_f16 v13, v52, s17, -v12
	v_add_f16_e32 v53, v13, v10
	v_add_f16_sdwa v13, v0, v19 dst_sel:DWORD dst_unused:UNUSED_PAD src0_sel:WORD_1 src1_sel:DWORD
	v_fma_f16 v10, v52, s17, v12
	s_mov_b32 s21, 0xbbad3abb
	v_add_f16_e32 v13, v32, v13
	v_add_f16_e32 v12, v10, v9
	v_pk_mul_f16 v9, v52, s21
	s_mov_b32 s21, 0x3853b482
	v_add_f16_e32 v13, v18, v13
	v_pk_fma_f16 v10, v14, s21, v9 op_sel:[0,0,1] op_sel_hi:[1,1,0] neg_lo:[1,0,0] neg_hi:[1,0,0]
	v_add_f16_e32 v13, v35, v13
	v_pk_fma_f16 v9, v14, s21, v9 op_sel:[0,0,1] op_sel_hi:[1,1,0]
	v_add_f16_sdwa v20, v0, v20 dst_sel:DWORD dst_unused:UNUSED_PAD src0_sel:DWORD src1_sel:WORD_1
	v_add_f16_e32 v13, v10, v13
	v_bfi_b32 v10, s19, v9, v10
	v_add_f16_sdwa v20, v33, v20 dst_sel:DWORD dst_unused:UNUSED_PAD src0_sel:WORD_1 src1_sel:DWORD
	v_pk_add_f16 v18, v10, v21
	v_lshrrev_b32_e32 v19, 16, v52
	v_mul_f16_e32 v10, 0x3853, v14
	v_add_f16_sdwa v16, v16, v20 dst_sel:DWORD dst_unused:UNUSED_PAD src0_sel:WORD_1 src1_sel:DWORD
	v_fma_f16 v21, v19, s3, v10
	v_add_f16_sdwa v16, v51, v16 dst_sel:DWORD dst_unused:UNUSED_PAD src0_sel:WORD_1 src1_sel:DWORD
	v_add_f16_e32 v21, v21, v22
	v_add_f16_sdwa v9, v9, v16 dst_sel:DWORD dst_unused:UNUSED_PAD src0_sel:WORD_1 src1_sel:DWORD
	v_fma_f16 v10, v19, s3, -v10
	v_mul_f16_sdwa v16, v14, s12 dst_sel:DWORD dst_unused:UNUSED_PAD src0_sel:WORD_1 src1_sel:DWORD
	v_mul_f16_e32 v22, 0xba0c, v14
	v_add_f16_e32 v10, v10, v23
	v_fma_f16 v20, v52, s16, -v16
	v_fma_f16 v23, v19, s16, v22
	v_add_f16_e32 v20, v20, v24
	v_add_f16_e32 v23, v23, v26
	v_fma_f16 v16, v52, s16, v16
	v_fma_f16 v22, v19, s16, -v22
	v_mul_f16_sdwa v24, v14, s18 dst_sel:DWORD dst_unused:UNUSED_PAD src0_sel:WORD_1 src1_sel:DWORD
	v_mul_f16_e32 v26, 0x3b47, v14
	v_add_f16_e32 v30, v54, v30
	v_add_f16_e32 v16, v16, v27
	;; [unrolled: 1-line block ×3, first 2 shown]
	v_fma_f16 v25, v52, s4, -v24
	v_fma_f16 v27, v19, s4, v26
	v_add_f16_e32 v25, v25, v28
	v_add_f16_e32 v27, v27, v30
	v_alignbit_b32 v21, v21, v18, 16
	v_pack_b32_f16 v18, v53, v18
	ds_write2_b32 v50, v18, v21 offset0:1 offset1:2
	v_pack_b32_f16 v18, v25, v27
	v_pack_b32_f16 v20, v20, v23
	v_pk_mul_f16 v3, v3, s17 op_sel_hi:[1,0]
	ds_write2_b32 v50, v20, v18 offset0:3 offset1:4
	v_pk_fma_f16 v18, v2, s20, v3 op_sel:[0,0,1] op_sel_hi:[1,0,0] neg_lo:[1,0,0] neg_hi:[1,0,0]
	v_alignbit_b32 v20, s0, v18, 16
	v_pk_fma_f16 v2, v2, s20, v3 op_sel:[0,0,1] op_sel_hi:[1,0,0]
	v_alignbit_b32 v1, s0, v0, 16
	s_movk_i32 s19, 0x3853
	v_pk_add_f16 v20, v0, v20
	v_pk_add_f16 v0, v0, v2 op_sel:[1,0] op_sel_hi:[0,1]
	v_pk_mul_f16 v2, v7, s3 op_sel_hi:[1,0]
	v_pk_fma_f16 v3, v6, s19, v2 op_sel:[0,0,1] op_sel_hi:[1,0,0] neg_lo:[1,0,0] neg_hi:[1,0,0]
	v_pk_fma_f16 v2, v6, s19, v2 op_sel:[0,0,1] op_sel_hi:[1,0,0]
	v_pk_add_f16 v1, v1, v18
	v_pk_add_f16 v0, v2, v0
	v_pk_mul_f16 v2, v11, s16 op_sel_hi:[1,0]
	v_alignbit_b32 v7, s0, v3, 16
	v_pk_add_f16 v1, v3, v1
	v_pk_fma_f16 v3, v8, s12, v2 op_sel:[0,0,1] op_sel_hi:[1,0,0] neg_lo:[1,0,0] neg_hi:[1,0,0]
	v_pk_fma_f16 v2, v8, s12, v2 op_sel:[0,0,1] op_sel_hi:[1,0,0]
	v_pk_add_f16 v0, v2, v0
	v_pk_mul_f16 v2, v34, s4 op_sel_hi:[1,0]
	v_alignbit_b32 v6, s0, v3, 16
	v_pk_add_f16 v1, v3, v1
	v_pk_fma_f16 v3, v15, s18, v2 op_sel:[0,0,1] op_sel_hi:[1,0,0] neg_lo:[1,0,0] neg_hi:[1,0,0]
	v_pk_fma_f16 v2, v15, s18, v2 op_sel:[0,0,1] op_sel_hi:[1,0,0]
	v_pk_add_f16 v7, v7, v20
	v_pk_add_f16 v0, v2, v0
	v_pk_mul_f16 v2, v52, s5 op_sel_hi:[1,0]
	v_pk_add_f16 v6, v6, v7
	v_alignbit_b32 v7, s0, v3, 16
	v_pk_add_f16 v1, v3, v1
	v_pk_fma_f16 v3, v14, s2, v2 op_sel:[0,0,1] op_sel_hi:[1,0,0] neg_lo:[1,0,0] neg_hi:[1,0,0]
	v_pk_add_f16 v6, v7, v6
	v_alignbit_b32 v7, s0, v3, 16
	v_pk_fma_f16 v2, v14, s2, v2 op_sel:[0,0,1] op_sel_hi:[1,0,0]
	v_fma_f16 v24, v52, s4, v24
	v_fma_f16 v19, v19, s4, -v26
	v_pk_add_f16 v6, v7, v6
	v_pk_add_f16 v0, v2, v0
	;; [unrolled: 1-line block ×3, first 2 shown]
	v_add_f16_e32 v24, v24, v31
	v_add_f16_e32 v19, v19, v29
	v_alignbit_b32 v1, v1, v0, 16
	v_pack_b32_f16 v0, v6, v0
	ds_write2_b32 v50, v0, v1 offset0:5 offset1:6
	v_pack_b32_f16 v0, v16, v22
	v_pack_b32_f16 v1, v24, v19
	ds_write2_b32 v50, v1, v0 offset0:7 offset1:8
	v_pack_b32_f16 v0, v12, v13
	v_pack_b32_f16 v1, v9, v10
	ds_write2_b32 v50, v1, v0 offset0:9 offset1:10
	s_waitcnt lgkmcnt(0)
	s_barrier
	ds_read2_b32 v[2:3], v36 offset1:132
	ds_read2_b32 v[0:1], v4 offset0:8 offset1:228
	v_add_u32_e32 v4, 0xe00, v36
	ds_read2_b32 v[6:7], v4 offset0:72 offset1:204
	ds_read2_b32 v[4:5], v5 offset0:104 offset1:236
	ds_read_b32 v14, v36 offset:4928
	s_movk_i32 s2, 0x58
	v_cmp_gt_u16_e64 s[2:3], s2, v46
                                        ; implicit-def: $vgpr11
                                        ; implicit-def: $vgpr15
	s_and_saveexec_b64 s[4:5], s[2:3]
	s_cbranch_execz .LBB0_3
; %bb.2:
	ds_read_b32 v9, v36 offset:1584
	ds_read_b32 v12, v36 offset:3520
	;; [unrolled: 1-line block ×3, first 2 shown]
	s_waitcnt lgkmcnt(2)
	v_lshrrev_b32_e32 v10, 16, v9
	s_waitcnt lgkmcnt(1)
	v_lshrrev_b32_e32 v13, 16, v12
	;; [unrolled: 2-line block ×3, first 2 shown]
.LBB0_3:
	s_or_b64 exec, exec, s[4:5]
	s_movk_i32 s4, 0x108
	v_add_co_u32_e32 v8, vcc, s4, v46
	s_movk_i32 s4, 0x75
	v_mul_lo_u16_sdwa v18, v46, s4 dst_sel:DWORD dst_unused:UNUSED_PAD src0_sel:BYTE_0 src1_sel:DWORD
	v_sub_u16_sdwa v19, v46, v18 dst_sel:DWORD dst_unused:UNUSED_PAD src0_sel:DWORD src1_sel:BYTE_1
	v_lshrrev_b16_e32 v19, 1, v19
	v_and_b32_e32 v19, 0x7f, v19
	v_add_u16_sdwa v18, v19, v18 dst_sel:DWORD dst_unused:UNUSED_PAD src0_sel:DWORD src1_sel:BYTE_1
	v_lshrrev_b16_e32 v29, 3, v18
	v_mul_lo_u16_e32 v18, 11, v29
	v_sub_u16_e32 v18, v46, v18
	v_and_b32_e32 v30, 0xff, v18
	v_lshlrev_b32_e32 v18, 3, v30
	global_load_dwordx2 v[18:19], v18, s[14:15]
	s_waitcnt lgkmcnt(3)
	v_lshrrev_b32_e32 v20, 16, v1
	s_waitcnt lgkmcnt(2)
	v_lshrrev_b32_e32 v21, 16, v6
	v_add_co_u32_e32 v16, vcc, 0x84, v46
	s_mov_b32 s4, 0xba2f
	s_waitcnt lgkmcnt(1)
	v_lshrrev_b32_e32 v22, 16, v4
	v_lshrrev_b32_e32 v23, 16, v7
	;; [unrolled: 1-line block ×3, first 2 shown]
	s_waitcnt lgkmcnt(0)
	v_lshrrev_b32_e32 v25, 16, v14
	v_lshrrev_b32_e32 v26, 16, v2
	s_mov_b32 s5, 0xbaee
	v_lshrrev_b32_e32 v27, 16, v3
	v_mul_u32_u24_e32 v29, 33, v29
	v_lshrrev_b32_e32 v28, 16, v0
	s_waitcnt vmcnt(0)
	v_mul_f16_sdwa v31, v20, v18 dst_sel:DWORD dst_unused:UNUSED_PAD src0_sel:DWORD src1_sel:WORD_1
	v_fma_f16 v31, v1, v18, -v31
	v_mul_f16_sdwa v1, v1, v18 dst_sel:DWORD dst_unused:UNUSED_PAD src0_sel:DWORD src1_sel:WORD_1
	v_fma_f16 v32, v20, v18, v1
	v_mul_f16_sdwa v1, v21, v19 dst_sel:DWORD dst_unused:UNUSED_PAD src0_sel:DWORD src1_sel:WORD_1
	v_fma_f16 v33, v6, v19, -v1
	v_mul_f16_sdwa v1, v6, v19 dst_sel:DWORD dst_unused:UNUSED_PAD src0_sel:DWORD src1_sel:WORD_1
	v_fma_f16 v34, v21, v19, v1
	v_mul_u32_u24_sdwa v1, v16, s4 dst_sel:DWORD dst_unused:UNUSED_PAD src0_sel:WORD_0 src1_sel:DWORD
	v_lshrrev_b32_e32 v35, 19, v1
	v_mul_lo_u16_e32 v1, 11, v35
	v_sub_u16_e32 v16, v16, v1
	v_lshlrev_b16_e32 v1, 1, v16
	v_lshlrev_b32_e32 v1, 2, v1
	global_load_dwordx2 v[20:21], v1, s[14:15]
	s_waitcnt vmcnt(0)
	v_mul_f16_sdwa v1, v22, v20 dst_sel:DWORD dst_unused:UNUSED_PAD src0_sel:DWORD src1_sel:WORD_1
	v_fma_f16 v53, v4, v20, -v1
	v_mul_f16_sdwa v1, v4, v20 dst_sel:DWORD dst_unused:UNUSED_PAD src0_sel:DWORD src1_sel:WORD_1
	v_fma_f16 v54, v22, v20, v1
	v_mul_f16_sdwa v1, v23, v21 dst_sel:DWORD dst_unused:UNUSED_PAD src0_sel:DWORD src1_sel:WORD_1
	v_fma_f16 v55, v7, v21, -v1
	v_mul_f16_sdwa v1, v7, v21 dst_sel:DWORD dst_unused:UNUSED_PAD src0_sel:DWORD src1_sel:WORD_1
	v_fma_f16 v7, v23, v21, v1
	v_mul_u32_u24_sdwa v1, v8, s4 dst_sel:DWORD dst_unused:UNUSED_PAD src0_sel:WORD_0 src1_sel:DWORD
	v_lshrrev_b32_e32 v56, 19, v1
	v_mul_lo_u16_e32 v1, 11, v56
	v_sub_u16_e32 v59, v8, v1
	v_lshlrev_b16_e32 v1, 1, v59
	v_lshlrev_b32_e32 v1, 2, v1
	global_load_dwordx2 v[22:23], v1, s[14:15]
	s_movk_i32 s4, 0x3aee
	s_waitcnt vmcnt(0)
	v_mul_f16_sdwa v1, v24, v22 dst_sel:DWORD dst_unused:UNUSED_PAD src0_sel:DWORD src1_sel:WORD_1
	v_fma_f16 v57, v5, v22, -v1
	v_mul_f16_sdwa v1, v5, v22 dst_sel:DWORD dst_unused:UNUSED_PAD src0_sel:DWORD src1_sel:WORD_1
	v_fma_f16 v58, v24, v22, v1
	v_mul_f16_sdwa v1, v25, v23 dst_sel:DWORD dst_unused:UNUSED_PAD src0_sel:DWORD src1_sel:WORD_1
	v_fma_f16 v60, v14, v23, -v1
	v_mul_f16_sdwa v1, v14, v23 dst_sel:DWORD dst_unused:UNUSED_PAD src0_sel:DWORD src1_sel:WORD_1
	v_fma_f16 v14, v25, v23, v1
	v_add_u16_e32 v1, 0x18c, v46
	v_mul_u32_u24_e32 v4, 0xba2f, v1
	v_lshrrev_b32_e32 v51, 19, v4
	v_mul_lo_u16_e32 v4, 11, v51
	v_sub_u16_e32 v52, v1, v4
	v_lshlrev_b16_e32 v1, 1, v52
	v_lshlrev_b32_e32 v1, 2, v1
	global_load_dwordx2 v[24:25], v1, s[14:15]
	s_waitcnt vmcnt(0)
	s_barrier
	v_mul_f16_sdwa v1, v13, v24 dst_sel:DWORD dst_unused:UNUSED_PAD src0_sel:DWORD src1_sel:WORD_1
	v_mul_f16_sdwa v4, v12, v24 dst_sel:DWORD dst_unused:UNUSED_PAD src0_sel:DWORD src1_sel:WORD_1
	v_fma_f16 v1, v12, v24, -v1
	v_fma_f16 v5, v13, v24, v4
	v_mul_f16_sdwa v4, v15, v25 dst_sel:DWORD dst_unused:UNUSED_PAD src0_sel:DWORD src1_sel:WORD_1
	v_add_f16_e32 v12, v31, v33
	v_fma_f16 v4, v11, v25, -v4
	v_mul_f16_sdwa v6, v11, v25 dst_sel:DWORD dst_unused:UNUSED_PAD src0_sel:DWORD src1_sel:WORD_1
	v_add_f16_e32 v11, v2, v31
	v_fma_f16 v2, v12, -0.5, v2
	v_sub_f16_e32 v12, v32, v34
	v_fma_f16 v13, v12, s4, v2
	v_fma_f16 v12, v12, s5, v2
	v_add_f16_e32 v2, v26, v32
	v_fma_f16 v6, v15, v25, v6
	v_add_f16_e32 v15, v2, v34
	v_add_f16_e32 v2, v32, v34
	v_fma_f16 v2, v2, -0.5, v26
	v_sub_f16_e32 v26, v31, v33
	v_fma_f16 v31, v26, s5, v2
	v_fma_f16 v26, v26, s4, v2
	v_add_f16_e32 v2, v3, v53
	v_add_f16_e32 v32, v2, v55
	;; [unrolled: 1-line block ×3, first 2 shown]
	v_fma_f16 v2, v2, -0.5, v3
	v_sub_f16_e32 v3, v54, v7
	v_add_f16_e32 v11, v11, v33
	v_fma_f16 v33, v3, s4, v2
	v_fma_f16 v34, v3, s5, v2
	v_add_f16_e32 v2, v27, v54
	v_add_f16_e32 v61, v2, v7
	v_add_f16_e32 v2, v54, v7
	v_fma_f16 v2, v2, -0.5, v27
	v_sub_f16_e32 v3, v53, v55
	v_fma_f16 v27, v3, s5, v2
	v_fma_f16 v55, v3, s4, v2
	v_add_f16_e32 v2, v0, v57
	v_add_f16_e32 v62, v2, v60
	;; [unrolled: 1-line block ×3, first 2 shown]
	v_add_lshl_u32 v53, v29, v30, 2
	v_pack_b32_f16 v11, v11, v15
	v_pack_b32_f16 v13, v13, v31
	v_fma_f16 v0, v2, -0.5, v0
	v_sub_f16_e32 v2, v58, v14
	ds_write2_b32 v53, v11, v13 offset1:11
	v_pack_b32_f16 v11, v12, v26
	v_fma_f16 v63, v2, s4, v0
	v_fma_f16 v64, v2, s5, v0
	v_add_f16_e32 v0, v28, v58
	ds_write_b32 v53, v11 offset:88
	v_mad_legacy_u16 v11, v35, 33, v16
	v_add_f16_e32 v65, v0, v14
	v_add_f16_e32 v0, v58, v14
	v_lshlrev_b32_e32 v54, 2, v11
	v_pack_b32_f16 v11, v32, v61
	v_pack_b32_f16 v12, v33, v27
	v_fma_f16 v0, v0, -0.5, v28
	v_sub_f16_e32 v2, v57, v60
	ds_write2_b32 v54, v11, v12 offset1:11
	v_pack_b32_f16 v11, v34, v55
	v_fma_f16 v14, v2, s5, v0
	v_fma_f16 v28, v2, s4, v0
	v_add_f16_e32 v0, v1, v4
	v_add_f16_e32 v3, v5, v6
	ds_write_b32 v54, v11 offset:88
	v_mad_legacy_u16 v11, v56, 33, v59
	v_fma_f16 v0, v0, -0.5, v9
	v_sub_f16_e32 v2, v5, v6
	v_fma_f16 v3, v3, -0.5, v10
	v_sub_f16_e32 v7, v1, v4
	v_lshlrev_b32_e32 v55, 2, v11
	v_pack_b32_f16 v11, v62, v65
	v_pack_b32_f16 v12, v63, v14
	v_fma_f16 v57, v2, s5, v0
	v_fma_f16 v58, v7, s4, v3
	ds_write2_b32 v55, v11, v12 offset1:11
	v_pack_b32_f16 v11, v64, v28
	ds_write_b32 v55, v11 offset:88
	s_and_saveexec_b64 s[4:5], s[2:3]
	s_cbranch_execz .LBB0_5
; %bb.4:
	v_mul_f16_e32 v2, 0x3aee, v2
	v_mul_f16_e32 v7, 0x3aee, v7
	v_add_f16_e32 v0, v2, v0
	v_add_f16_e32 v2, v10, v5
	;; [unrolled: 1-line block ×3, first 2 shown]
	v_sub_f16_e32 v3, v3, v7
	v_add_f16_e32 v2, v2, v6
	v_add_f16_e32 v1, v1, v4
	v_mad_legacy_u16 v4, v51, 33, v52
	v_lshlrev_b32_e32 v4, 2, v4
	v_pack_b32_f16 v1, v1, v2
	v_pack_b32_f16 v0, v0, v3
	s_mov_b32 s12, 0x5040100
	ds_write2_b32 v4, v1, v0 offset1:11
	v_perm_b32 v0, v58, v57, s12
	ds_write_b32 v4, v0 offset:88
.LBB0_5:
	s_or_b64 exec, exec, s[4:5]
	s_movk_i32 s4, 0xf9
	v_mul_lo_u16_sdwa v0, v46, s4 dst_sel:DWORD dst_unused:UNUSED_PAD src0_sel:BYTE_0 src1_sel:DWORD
	v_lshrrev_b16_e32 v30, 13, v0
	v_mul_lo_u16_e32 v0, 33, v30
	v_sub_u16_e32 v0, v46, v0
	v_and_b32_e32 v31, 0xff, v0
	v_mad_u64_u32 v[9:10], s[4:5], v31, 40, s[14:15]
	s_waitcnt lgkmcnt(0)
	s_barrier
	global_load_dwordx4 v[0:3], v[9:10], off offset:88
	global_load_dwordx4 v[4:7], v[9:10], off offset:104
	global_load_dwordx2 v[26:27], v[9:10], off offset:120
	ds_read2_b32 v[9:10], v36 offset1:132
	v_add_u32_e32 v32, 0x400, v36
	v_add_u32_e32 v13, 0x800, v36
	;; [unrolled: 1-line block ×4, first 2 shown]
	ds_read_b32 v33, v36 offset:5280
	ds_read2_b32 v[11:12], v32 offset0:8 offset1:140
	ds_read2_b32 v[13:14], v13 offset0:16 offset1:148
	;; [unrolled: 1-line block ×4, first 2 shown]
	s_waitcnt lgkmcnt(5)
	v_lshrrev_b32_e32 v35, 16, v10
	s_waitcnt lgkmcnt(3)
	v_lshrrev_b32_e32 v59, 16, v11
	v_lshrrev_b32_e32 v60, 16, v12
	s_waitcnt lgkmcnt(2)
	v_lshrrev_b32_e32 v61, 16, v13
	;; [unrolled: 3-line block ×4, first 2 shown]
	v_lshrrev_b32_e32 v56, 16, v33
	v_lshrrev_b32_e32 v66, 16, v29
	s_movk_i32 s4, 0x3abb
	s_movk_i32 s5, 0x36a6
	s_mov_b32 s12, 0xb08e
	s_waitcnt vmcnt(0)
	s_barrier
	v_mul_f16_sdwa v67, v35, v0 dst_sel:DWORD dst_unused:UNUSED_PAD src0_sel:DWORD src1_sel:WORD_1
	v_mul_f16_sdwa v68, v10, v0 dst_sel:DWORD dst_unused:UNUSED_PAD src0_sel:DWORD src1_sel:WORD_1
	v_mul_f16_sdwa v69, v59, v1 dst_sel:DWORD dst_unused:UNUSED_PAD src0_sel:DWORD src1_sel:WORD_1
	v_mul_f16_sdwa v70, v11, v1 dst_sel:DWORD dst_unused:UNUSED_PAD src0_sel:DWORD src1_sel:WORD_1
	v_fma_f16 v10, v10, v0, -v67
	v_fma_f16 v35, v35, v0, v68
	v_mul_f16_sdwa v71, v60, v2 dst_sel:DWORD dst_unused:UNUSED_PAD src0_sel:DWORD src1_sel:WORD_1
	v_mul_f16_sdwa v72, v12, v2 dst_sel:DWORD dst_unused:UNUSED_PAD src0_sel:DWORD src1_sel:WORD_1
	v_fma_f16 v11, v11, v1, -v69
	v_fma_f16 v59, v59, v1, v70
	v_add_f16_e32 v67, v9, v10
	v_add_f16_sdwa v68, v9, v35 dst_sel:DWORD dst_unused:UNUSED_PAD src0_sel:WORD_1 src1_sel:DWORD
	v_mul_f16_sdwa v73, v61, v3 dst_sel:DWORD dst_unused:UNUSED_PAD src0_sel:DWORD src1_sel:WORD_1
	v_mul_f16_sdwa v74, v13, v3 dst_sel:DWORD dst_unused:UNUSED_PAD src0_sel:DWORD src1_sel:WORD_1
	v_fma_f16 v12, v12, v2, -v71
	v_fma_f16 v60, v60, v2, v72
	v_add_f16_e32 v67, v67, v11
	v_add_f16_e32 v68, v68, v59
	v_mul_f16_sdwa v75, v62, v4 dst_sel:DWORD dst_unused:UNUSED_PAD src0_sel:DWORD src1_sel:WORD_1
	v_mul_f16_sdwa v76, v14, v4 dst_sel:DWORD dst_unused:UNUSED_PAD src0_sel:DWORD src1_sel:WORD_1
	v_fma_f16 v13, v13, v3, -v73
	v_fma_f16 v61, v61, v3, v74
	v_add_f16_e32 v67, v67, v12
	v_add_f16_e32 v68, v68, v60
	;; [unrolled: 6-line block ×5, first 2 shown]
	v_mul_f16_sdwa v83, v66, v26 dst_sel:DWORD dst_unused:UNUSED_PAD src0_sel:DWORD src1_sel:WORD_1
	v_mul_f16_sdwa v84, v29, v26 dst_sel:DWORD dst_unused:UNUSED_PAD src0_sel:DWORD src1_sel:WORD_1
	;; [unrolled: 1-line block ×4, first 2 shown]
	v_fma_f16 v28, v28, v7, -v81
	v_fma_f16 v65, v65, v7, v82
	v_add_f16_e32 v67, v67, v16
	v_add_f16_e32 v68, v68, v64
	v_fma_f16 v29, v29, v26, -v83
	v_fma_f16 v66, v66, v26, v84
	v_fma_f16 v33, v33, v27, -v85
	v_fma_f16 v56, v56, v27, v86
	v_add_f16_e32 v67, v67, v28
	v_add_f16_e32 v68, v68, v65
	;; [unrolled: 1-line block ×4, first 2 shown]
	v_sub_f16_e32 v10, v10, v33
	v_sub_f16_e32 v35, v35, v56
	v_add_f16_e32 v67, v67, v29
	v_add_f16_e32 v68, v68, v66
	v_mul_f16_e32 v71, 0xb853, v35
	v_add_f16_e32 v33, v67, v33
	v_add_f16_e32 v67, v68, v56
	v_mul_f16_e32 v56, 0xb853, v10
	v_mul_f16_e32 v73, 0xbb47, v35
	;; [unrolled: 1-line block ×9, first 2 shown]
	v_fma_f16 v72, v69, s4, -v71
	v_fma_f16 v68, v70, s4, v56
	v_fma_f16 v71, v69, s4, v71
	v_fma_f16 v56, v70, s4, -v56
	v_fma_f16 v74, v69, s5, -v73
	v_fma_f16 v76, v70, s5, v75
	v_fma_f16 v73, v69, s5, v73
	v_fma_f16 v75, v70, s5, -v75
	;; [unrolled: 4-line block ×5, first 2 shown]
	v_add_f16_e32 v72, v9, v72
	v_add_f16_sdwa v68, v9, v68 dst_sel:DWORD dst_unused:UNUSED_PAD src0_sel:WORD_1 src1_sel:DWORD
	v_add_f16_e32 v71, v9, v71
	v_add_f16_sdwa v56, v9, v56 dst_sel:DWORD dst_unused:UNUSED_PAD src0_sel:WORD_1 src1_sel:DWORD
	v_add_f16_e32 v74, v9, v74
	v_add_f16_sdwa v76, v9, v76 dst_sel:DWORD dst_unused:UNUSED_PAD src0_sel:WORD_1 src1_sel:DWORD
	v_add_f16_e32 v73, v9, v73
	v_add_f16_sdwa v75, v9, v75 dst_sel:DWORD dst_unused:UNUSED_PAD src0_sel:WORD_1 src1_sel:DWORD
	v_add_f16_e32 v78, v9, v78
	v_add_f16_sdwa v80, v9, v80 dst_sel:DWORD dst_unused:UNUSED_PAD src0_sel:WORD_1 src1_sel:DWORD
	v_add_f16_e32 v77, v9, v77
	v_add_f16_sdwa v79, v9, v79 dst_sel:DWORD dst_unused:UNUSED_PAD src0_sel:WORD_1 src1_sel:DWORD
	v_add_f16_e32 v82, v9, v82
	v_add_f16_sdwa v84, v9, v84 dst_sel:DWORD dst_unused:UNUSED_PAD src0_sel:WORD_1 src1_sel:DWORD
	v_add_f16_e32 v81, v9, v81
	v_add_f16_sdwa v83, v9, v83 dst_sel:DWORD dst_unused:UNUSED_PAD src0_sel:WORD_1 src1_sel:DWORD
	v_add_f16_e32 v85, v9, v85
	v_add_f16_sdwa v86, v9, v86 dst_sel:DWORD dst_unused:UNUSED_PAD src0_sel:WORD_1 src1_sel:DWORD
	v_add_f16_e32 v35, v9, v35
	v_add_f16_sdwa v9, v9, v10 dst_sel:DWORD dst_unused:UNUSED_PAD src0_sel:WORD_1 src1_sel:DWORD
	v_add_f16_e32 v10, v11, v29
	v_sub_f16_e32 v11, v11, v29
	v_sub_f16_e32 v29, v59, v66
	v_add_f16_e32 v69, v59, v66
	v_mul_f16_e32 v59, 0xbb47, v29
	v_fma_f16 v66, v10, s5, -v59
	v_mul_f16_e32 v70, 0xbb47, v11
	v_add_f16_e32 v66, v66, v72
	v_fma_f16 v72, v69, s5, v70
	v_fma_f16 v70, v69, s5, -v70
	v_fma_f16 v59, v10, s5, v59
	v_add_f16_e32 v56, v70, v56
	v_mul_f16_e32 v70, 0xba0c, v29
	v_add_f16_e32 v68, v72, v68
	v_add_f16_e32 v59, v59, v71
	v_fma_f16 v71, v10, s16, -v70
	v_mul_f16_e32 v72, 0xba0c, v11
	v_fma_f16 v70, v10, s16, v70
	v_add_f16_e32 v71, v71, v74
	v_fma_f16 v74, v69, s16, v72
	v_add_f16_e32 v70, v70, v73
	v_fma_f16 v72, v69, s16, -v72
	v_mul_f16_e32 v73, 0x3482, v29
	v_add_f16_e32 v74, v74, v76
	v_add_f16_e32 v72, v72, v75
	v_fma_f16 v75, v10, s17, -v73
	v_mul_f16_e32 v76, 0x3482, v11
	v_fma_f16 v73, v10, s17, v73
	v_add_f16_e32 v75, v75, v78
	v_fma_f16 v78, v69, s17, v76
	v_add_f16_e32 v73, v73, v77
	v_fma_f16 v76, v69, s17, -v76
	v_mul_f16_e32 v77, 0x3beb, v29
	v_add_f16_e32 v78, v78, v80
	v_add_f16_e32 v76, v76, v79
	v_fma_f16 v79, v10, s12, -v77
	v_mul_f16_e32 v80, 0x3beb, v11
	v_add_f16_e32 v79, v79, v82
	v_fma_f16 v82, v69, s12, v80
	v_fma_f16 v80, v69, s12, -v80
	v_mul_f16_e32 v11, 0x3853, v11
	v_fma_f16 v77, v10, s12, v77
	v_add_f16_e32 v80, v80, v83
	v_mul_f16_e32 v29, 0x3853, v29
	v_fma_f16 v83, v69, s4, v11
	v_fma_f16 v11, v69, s4, -v11
	v_add_f16_e32 v77, v77, v81
	v_fma_f16 v81, v10, s4, -v29
	v_fma_f16 v10, v10, s4, v29
	v_add_f16_e32 v9, v11, v9
	v_add_f16_e32 v11, v12, v28
	v_sub_f16_e32 v12, v12, v28
	v_sub_f16_e32 v28, v60, v65
	v_add_f16_e32 v10, v10, v35
	v_mul_f16_e32 v35, 0xbbeb, v28
	v_add_f16_e32 v29, v60, v65
	v_fma_f16 v60, v11, s12, -v35
	v_mul_f16_e32 v65, 0xbbeb, v12
	v_fma_f16 v35, v11, s12, v35
	v_add_f16_e32 v35, v35, v59
	v_fma_f16 v59, v29, s12, -v65
	v_add_f16_e32 v56, v59, v56
	v_mul_f16_e32 v59, 0x3482, v28
	v_add_f16_e32 v60, v60, v66
	v_fma_f16 v66, v29, s12, v65
	v_fma_f16 v65, v11, s17, -v59
	v_fma_f16 v59, v11, s17, v59
	v_add_f16_e32 v66, v66, v68
	v_mul_f16_e32 v68, 0x3482, v12
	v_add_f16_e32 v59, v59, v70
	v_mul_f16_e32 v70, 0x3b47, v28
	v_add_f16_e32 v65, v65, v71
	v_fma_f16 v69, v29, s17, v68
	v_fma_f16 v68, v29, s17, -v68
	v_fma_f16 v71, v11, s5, -v70
	v_fma_f16 v70, v11, s5, v70
	v_add_f16_e32 v68, v68, v72
	v_mul_f16_e32 v72, 0x3b47, v12
	v_add_f16_e32 v70, v70, v73
	v_mul_f16_e32 v73, 0xb853, v28
	v_add_f16_e32 v69, v69, v74
	v_add_f16_e32 v71, v71, v75
	v_fma_f16 v74, v29, s5, v72
	v_fma_f16 v72, v29, s5, -v72
	v_fma_f16 v75, v11, s4, -v73
	v_fma_f16 v73, v11, s4, v73
	v_mul_f16_e32 v28, 0xba0c, v28
	v_add_f16_e32 v72, v72, v76
	v_mul_f16_e32 v76, 0xb853, v12
	v_add_f16_e32 v73, v73, v77
	v_fma_f16 v77, v11, s16, -v28
	v_mul_f16_e32 v12, 0xba0c, v12
	v_fma_f16 v11, v11, s16, v28
	v_add_f16_e32 v10, v11, v10
	v_fma_f16 v11, v29, s16, -v12
	v_add_f16_e32 v9, v11, v9
	v_add_f16_e32 v11, v13, v16
	v_sub_f16_e32 v13, v13, v16
	v_sub_f16_e32 v16, v61, v64
	v_mul_f16_e32 v28, 0xba0c, v16
	v_add_f16_e32 v74, v74, v78
	v_add_f16_e32 v75, v75, v79
	v_fma_f16 v78, v29, s4, v76
	v_fma_f16 v76, v29, s4, -v76
	v_fma_f16 v79, v29, s16, v12
	v_fma_f16 v29, v11, s16, -v28
	v_add_f16_e32 v12, v61, v64
	v_add_f16_e32 v29, v29, v60
	v_mul_f16_e32 v60, 0xba0c, v13
	v_fma_f16 v28, v11, s16, v28
	v_add_f16_e32 v28, v28, v35
	v_fma_f16 v35, v12, s16, -v60
	v_add_f16_e32 v35, v35, v56
	v_mul_f16_e32 v56, 0x3beb, v16
	v_fma_f16 v61, v12, s16, v60
	v_fma_f16 v60, v11, s12, -v56
	v_mul_f16_e32 v64, 0x3beb, v13
	v_fma_f16 v56, v11, s12, v56
	v_add_f16_e32 v60, v60, v65
	v_fma_f16 v65, v12, s12, v64
	v_add_f16_e32 v56, v56, v59
	v_fma_f16 v59, v12, s12, -v64
	v_mul_f16_e32 v64, 0xb853, v16
	v_add_f16_e32 v61, v61, v66
	v_add_f16_e32 v59, v59, v68
	v_fma_f16 v66, v11, s4, -v64
	v_mul_f16_e32 v68, 0xb853, v13
	v_fma_f16 v64, v11, s4, v64
	v_add_f16_e32 v70, v64, v70
	v_fma_f16 v64, v12, s4, -v68
	v_add_f16_e32 v65, v65, v69
	v_fma_f16 v69, v12, s4, v68
	v_add_f16_e32 v68, v64, v72
	v_mul_f16_e32 v64, 0xb482, v16
	v_add_f16_e32 v66, v66, v71
	v_fma_f16 v71, v11, s17, -v64
	v_mul_f16_e32 v72, 0xb482, v13
	v_fma_f16 v64, v11, s17, v64
	v_add_f16_e32 v76, v76, v80
	v_add_f16_e32 v73, v64, v73
	v_fma_f16 v64, v12, s17, -v72
	v_mul_f16_e32 v16, 0x3b47, v16
	v_add_f16_e32 v81, v81, v85
	v_add_f16_e32 v69, v69, v74
	v_fma_f16 v74, v12, s17, v72
	v_add_f16_e32 v72, v64, v76
	v_fma_f16 v64, v11, s5, -v16
	v_mul_f16_e32 v13, 0x3b47, v13
	v_fma_f16 v11, v11, s5, v16
	v_add_f16_e32 v77, v77, v81
	v_add_f16_e32 v10, v11, v10
	v_fma_f16 v11, v12, s5, -v13
	v_add_f16_e32 v71, v71, v75
	v_add_f16_e32 v75, v64, v77
	v_fma_f16 v64, v12, s5, v13
	v_add_f16_e32 v9, v11, v9
	v_add_f16_e32 v11, v14, v15
	v_sub_f16_e32 v13, v14, v15
	v_sub_f16_e32 v14, v62, v63
	v_mul_f16_e32 v15, 0xb482, v14
	v_fma_f16 v16, v11, s17, -v15
	v_add_f16_e32 v12, v62, v63
	v_add_f16_e32 v16, v16, v29
	v_mul_f16_e32 v29, 0xb482, v13
	v_fma_f16 v62, v12, s17, v29
	v_fma_f16 v15, v11, s17, v15
	v_add_f16_e32 v77, v62, v61
	v_add_f16_e32 v61, v15, v28
	v_fma_f16 v15, v12, s17, -v29
	v_add_f16_e32 v62, v15, v35
	v_mul_f16_e32 v15, 0x3853, v14
	v_add_f16_e32 v83, v83, v86
	v_fma_f16 v28, v11, s4, -v15
	v_mul_f16_e32 v29, 0x3853, v13
	v_fma_f16 v15, v11, s4, v15
	v_add_f16_e32 v79, v79, v83
	v_add_f16_e32 v63, v15, v56
	v_fma_f16 v15, v12, s4, -v29
	v_add_f16_e32 v76, v64, v79
	v_add_f16_e32 v64, v15, v59
	v_mul_f16_e32 v15, 0xba0c, v14
	v_mul_f16_e32 v56, 0xba0c, v13
	v_fma_f16 v35, v12, s4, v29
	v_fma_f16 v29, v11, s16, -v15
	v_fma_f16 v59, v12, s16, v56
	v_fma_f16 v15, v11, s16, v15
	v_add_f16_e32 v35, v35, v65
	v_add_f16_e32 v65, v59, v69
	;; [unrolled: 1-line block ×3, first 2 shown]
	v_fma_f16 v15, v12, s16, -v56
	v_add_f16_e32 v28, v28, v60
	v_add_f16_e32 v60, v15, v68
	v_mul_f16_e32 v15, 0x3b47, v14
	v_fma_f16 v56, v11, s5, -v15
	v_add_f16_e32 v29, v29, v66
	v_add_f16_e32 v66, v56, v71
	v_mul_f16_e32 v56, 0x3b47, v13
	v_fma_f16 v68, v12, s5, v56
	v_fma_f16 v56, v12, s5, -v56
	v_mul_f16_e32 v14, 0xbbeb, v14
	v_fma_f16 v15, v11, s5, v15
	v_add_f16_e32 v69, v56, v72
	v_fma_f16 v56, v11, s12, -v14
	v_mul_f16_e32 v13, 0xbbeb, v13
	v_fma_f16 v11, v11, s12, v14
	v_add_f16_e32 v82, v82, v84
	v_add_f16_e32 v10, v11, v10
	v_fma_f16 v11, v12, s12, -v13
	v_add_f16_e32 v78, v78, v82
	v_add_f16_e32 v70, v56, v75
	v_fma_f16 v56, v12, s12, v13
	v_add_f16_e32 v9, v11, v9
	v_mul_u32_u24_e32 v11, 0x16b, v30
	v_add_f16_e32 v74, v74, v78
	v_add_f16_e32 v71, v56, v76
	v_add_lshl_u32 v56, v11, v31, 2
	v_pack_b32_f16 v11, v33, v67
	v_pack_b32_f16 v12, v16, v77
	v_add_f16_e32 v68, v68, v74
	v_add_f16_e32 v15, v15, v73
	ds_write2_b32 v56, v11, v12 offset1:33
	v_pack_b32_f16 v11, v28, v35
	v_pack_b32_f16 v12, v29, v65
	ds_write2_b32 v56, v11, v12 offset0:66 offset1:99
	v_pack_b32_f16 v11, v66, v68
	v_pack_b32_f16 v12, v70, v71
	;; [unrolled: 1-line block ×4, first 2 shown]
	ds_write2_b32 v56, v11, v12 offset0:132 offset1:165
	ds_write2_b32 v56, v9, v10 offset0:198 offset1:231
	v_pack_b32_f16 v9, v59, v60
	v_pack_b32_f16 v10, v63, v64
	v_add_u32_e32 v11, 0x400, v56
	ds_write2_b32 v11, v9, v10 offset0:8 offset1:41
	v_pack_b32_f16 v9, v61, v62
	ds_write_b32 v56, v9 offset:1320
	v_add_u32_e32 v9, 0xa00, v36
	s_waitcnt lgkmcnt(0)
	s_barrier
	ds_read2_b32 v[28:29], v36 offset1:132
	ds_read2_b32 v[30:31], v32 offset0:107 offset1:239
	ds_read2_b32 v[32:33], v9 offset0:86 offset1:218
	;; [unrolled: 1-line block ×3, first 2 shown]
	s_movk_i32 s4, 0x63
	v_cmp_gt_u16_e64 s[4:5], s4, v46
	s_and_saveexec_b64 s[16:17], s[4:5]
	s_cbranch_execz .LBB0_7
; %bb.6:
	ds_read_b32 v59, v36 offset:1056
	ds_read_b32 v63, v36 offset:2508
	;; [unrolled: 1-line block ×4, first 2 shown]
	s_waitcnt lgkmcnt(3)
	v_lshrrev_b32_e32 v60, 16, v59
	s_waitcnt lgkmcnt(2)
	v_lshrrev_b32_e32 v64, 16, v63
	;; [unrolled: 2-line block ×4, first 2 shown]
.LBB0_7:
	s_or_b64 exec, exec, s[16:17]
	v_mad_u64_u32 v[9:10], s[16:17], v46, 12, s[14:15]
	v_add_u32_e32 v14, 0xffffff9d, v46
	v_cndmask_b32_e64 v8, v14, v8, s[4:5]
	v_mul_hi_i32_i24_e32 v66, 12, v8
	v_mul_i32_i24_e32 v8, 12, v8
	v_mov_b32_e32 v65, s15
	v_add_co_u32_e32 v8, vcc, s14, v8
	global_load_dwordx3 v[11:13], v[9:10], off offset:1408
	global_load_dwordx3 v[14:16], v[9:10], off offset:2992
	v_addc_co_u32_e32 v9, vcc, v65, v66, vcc
	global_load_dwordx3 v[8:10], v[8:9], off offset:1408
	s_waitcnt lgkmcnt(2)
	v_lshrrev_b32_e32 v66, 16, v30
	s_waitcnt lgkmcnt(1)
	v_lshrrev_b32_e32 v67, 16, v32
	;; [unrolled: 2-line block ×3, first 2 shown]
	v_lshrrev_b32_e32 v70, 16, v31
	v_lshrrev_b32_e32 v71, 16, v33
	;; [unrolled: 1-line block ×5, first 2 shown]
	s_waitcnt vmcnt(2)
	v_mul_f16_sdwa v73, v66, v11 dst_sel:DWORD dst_unused:UNUSED_PAD src0_sel:DWORD src1_sel:WORD_1
	v_mul_f16_sdwa v74, v30, v11 dst_sel:DWORD dst_unused:UNUSED_PAD src0_sel:DWORD src1_sel:WORD_1
	;; [unrolled: 1-line block ×6, first 2 shown]
	s_waitcnt vmcnt(1)
	v_mul_f16_sdwa v79, v70, v14 dst_sel:DWORD dst_unused:UNUSED_PAD src0_sel:DWORD src1_sel:WORD_1
	v_mul_f16_sdwa v80, v31, v14 dst_sel:DWORD dst_unused:UNUSED_PAD src0_sel:DWORD src1_sel:WORD_1
	;; [unrolled: 1-line block ×6, first 2 shown]
	s_waitcnt vmcnt(0)
	v_mul_f16_sdwa v85, v64, v8 dst_sel:DWORD dst_unused:UNUSED_PAD src0_sel:DWORD src1_sel:WORD_1
	v_mul_f16_sdwa v86, v63, v8 dst_sel:DWORD dst_unused:UNUSED_PAD src0_sel:DWORD src1_sel:WORD_1
	v_fma_f16 v73, v30, v11, -v73
	v_fma_f16 v66, v66, v11, v74
	v_fma_f16 v32, v32, v12, -v75
	v_fma_f16 v67, v67, v12, v76
	;; [unrolled: 2-line block ×7, first 2 shown]
	v_sub_f16_e32 v32, v28, v32
	v_sub_f16_e32 v63, v65, v67
	;; [unrolled: 1-line block ×8, first 2 shown]
	v_mul_f16_sdwa v88, v61, v9 dst_sel:DWORD dst_unused:UNUSED_PAD src0_sel:DWORD src1_sel:WORD_1
	v_fma_f16 v28, v28, 2.0, -v32
	v_fma_f16 v65, v65, 2.0, -v63
	;; [unrolled: 1-line block ×4, first 2 shown]
	v_sub_f16_e32 v64, v32, v64
	v_add_f16_e32 v34, v63, v34
	v_fma_f16 v29, v29, 2.0, -v33
	v_fma_f16 v69, v69, 2.0, -v67
	;; [unrolled: 1-line block ×4, first 2 shown]
	v_mul_f16_sdwa v87, v62, v9 dst_sel:DWORD dst_unused:UNUSED_PAD src0_sel:DWORD src1_sel:WORD_1
	v_fma_f16 v62, v62, v9, v88
	v_sub_f16_e32 v71, v28, v71
	v_sub_f16_e32 v66, v65, v66
	v_fma_f16 v73, v32, 2.0, -v64
	v_fma_f16 v63, v63, 2.0, -v34
	v_sub_f16_e32 v72, v29, v72
	v_sub_f16_e32 v70, v69, v70
	v_fma_f16 v61, v61, v9, -v87
	v_sub_f16_e32 v68, v33, v68
	v_add_f16_e32 v35, v67, v35
	v_fma_f16 v75, v28, 2.0, -v71
	v_fma_f16 v65, v65, 2.0, -v66
	;; [unrolled: 1-line block ×4, first 2 shown]
	v_sub_f16_e32 v28, v60, v62
	v_pack_b32_f16 v62, v73, v63
	v_pack_b32_f16 v34, v64, v34
	v_mul_f16_sdwa v89, v58, v10 dst_sel:DWORD dst_unused:UNUSED_PAD src0_sel:DWORD src1_sel:WORD_1
	v_mul_f16_sdwa v90, v57, v10 dst_sel:DWORD dst_unused:UNUSED_PAD src0_sel:DWORD src1_sel:WORD_1
	v_fma_f16 v74, v33, 2.0, -v68
	v_fma_f16 v67, v67, 2.0, -v35
	v_sub_f16_e32 v32, v59, v61
	v_pack_b32_f16 v61, v75, v65
	ds_write_b32 v36, v62 offset:1452
	v_pack_b32_f16 v62, v71, v66
	ds_write_b32 v36, v34 offset:4356
	v_pack_b32_f16 v34, v76, v69
	v_fma_f16 v57, v57, v10, -v89
	v_fma_f16 v58, v58, v10, v90
	ds_write_b32 v36, v62 offset:2904
	ds_write2_b32 v36, v61, v34 offset1:132
	v_pack_b32_f16 v34, v74, v67
	v_sub_f16_e32 v33, v31, v57
	v_sub_f16_e32 v29, v30, v58
	ds_write_b32 v36, v34 offset:1980
	v_pack_b32_f16 v34, v72, v70
	v_sub_f16_e32 v57, v32, v29
	v_add_f16_e32 v58, v28, v33
	ds_write_b32 v36, v34 offset:3432
	v_pack_b32_f16 v34, v68, v35
	ds_write_b32 v36, v34 offset:4884
	s_and_saveexec_b64 s[14:15], s[4:5]
	s_cbranch_execz .LBB0_9
; %bb.8:
	v_fma_f16 v34, v32, 2.0, -v57
	v_fma_f16 v35, v28, 2.0, -v58
	;; [unrolled: 1-line block ×6, first 2 shown]
	v_sub_f16_e32 v31, v32, v31
	v_sub_f16_e32 v29, v28, v29
	v_fma_f16 v32, v32, 2.0, -v31
	v_fma_f16 v28, v28, 2.0, -v29
	v_pack_b32_f16 v28, v32, v28
	ds_write_b32 v36, v28 offset:1056
	v_pack_b32_f16 v28, v34, v35
	ds_write_b32 v36, v28 offset:2508
	v_pack_b32_f16 v28, v31, v29
	s_mov_b32 s12, 0x5040100
	ds_write_b32 v36, v28 offset:3960
	v_perm_b32 v28, v58, v57, s12
	ds_write_b32 v36, v28 offset:5412
.LBB0_9:
	s_or_b64 exec, exec, s[14:15]
	v_mov_b32_e32 v28, s13
	v_addc_co_u32_e64 v31, vcc, 0, v28, s[0:1]
	v_add_co_u32_e32 v28, vcc, 0x16b0, v49
	s_mov_b64 s[0:1], vcc
	v_add_co_u32_e32 v29, vcc, 0x1000, v49
	v_addc_co_u32_e32 v30, vcc, 0, v31, vcc
	s_waitcnt lgkmcnt(0)
	s_barrier
	global_load_dword v30, v[29:30], off offset:1712
	v_addc_co_u32_e64 v29, vcc, 0, v31, s[0:1]
	global_load_dword v32, v[28:29], off offset:528
	global_load_dword v59, v[28:29], off offset:1056
	;; [unrolled: 1-line block ×7, first 2 shown]
	s_movk_i32 s0, 0x2000
	v_add_co_u32_e32 v28, vcc, s0, v49
	v_addc_co_u32_e32 v29, vcc, 0, v31, vcc
	global_load_dword v49, v[28:29], off offset:1840
	global_load_dword v65, v[28:29], off offset:2368
	;; [unrolled: 1-line block ×3, first 2 shown]
	ds_read2_b32 v[28:29], v36 offset1:132
	v_add_u32_e32 v67, 0x400, v36
	v_add_u32_e32 v68, 0x800, v36
	;; [unrolled: 1-line block ×3, first 2 shown]
	s_mov_b32 s16, 0xb853
	s_waitcnt lgkmcnt(0)
	v_lshrrev_b32_e32 v31, 16, v28
	v_lshrrev_b32_e32 v33, 16, v29
	s_movk_i32 s14, 0x3abb
	s_mov_b32 s17, 0xbb47
	s_mov_b32 s0, 0xffff
	s_movk_i32 s1, 0x36a6
	s_mov_b32 s19, 0xba0c
	s_mov_b32 s20, 0xb93d
	;; [unrolled: 3-line block ×3, first 2 shown]
	s_movk_i32 s22, 0x3482
	s_movk_i32 s21, 0x3a0c
	s_mov_b32 s23, 0xbbad
	s_movk_i32 s18, 0x3beb
	s_mov_b32 s24, 0xb482
	s_movk_i32 s25, 0x3853
	s_waitcnt vmcnt(10)
	v_mul_f16_sdwa v34, v31, v30 dst_sel:DWORD dst_unused:UNUSED_PAD src0_sel:DWORD src1_sel:WORD_1
	v_mul_f16_sdwa v35, v28, v30 dst_sel:DWORD dst_unused:UNUSED_PAD src0_sel:DWORD src1_sel:WORD_1
	s_waitcnt vmcnt(9)
	v_mul_f16_sdwa v70, v33, v32 dst_sel:DWORD dst_unused:UNUSED_PAD src0_sel:DWORD src1_sel:WORD_1
	v_mul_f16_sdwa v71, v29, v32 dst_sel:DWORD dst_unused:UNUSED_PAD src0_sel:DWORD src1_sel:WORD_1
	v_fma_f16 v28, v28, v30, -v34
	v_fma_f16 v30, v31, v30, v35
	v_fma_f16 v29, v29, v32, -v70
	v_fma_f16 v31, v33, v32, v71
	v_pack_b32_f16 v28, v28, v30
	v_pack_b32_f16 v29, v29, v31
	ds_write2_b32 v36, v28, v29 offset1:132
	ds_read2_b32 v[28:29], v67 offset0:8 offset1:140
	v_add_u32_e32 v70, 0x1000, v36
	ds_read2_b32 v[30:31], v68 offset0:16 offset1:148
	ds_read2_b32 v[32:33], v69 offset0:24 offset1:156
	;; [unrolled: 1-line block ×3, first 2 shown]
	s_waitcnt lgkmcnt(3)
	v_lshrrev_b32_e32 v71, 16, v28
	s_waitcnt vmcnt(8)
	v_mul_f16_sdwa v72, v28, v59 dst_sel:DWORD dst_unused:UNUSED_PAD src0_sel:DWORD src1_sel:WORD_1
	v_lshrrev_b32_e32 v73, 16, v29
	s_waitcnt vmcnt(7)
	v_mul_f16_sdwa v74, v29, v60 dst_sel:DWORD dst_unused:UNUSED_PAD src0_sel:DWORD src1_sel:WORD_1
	s_waitcnt lgkmcnt(2)
	v_lshrrev_b32_e32 v75, 16, v30
	s_waitcnt vmcnt(6)
	v_mul_f16_sdwa v76, v30, v61 dst_sel:DWORD dst_unused:UNUSED_PAD src0_sel:DWORD src1_sel:WORD_1
	v_lshrrev_b32_e32 v77, 16, v31
	s_waitcnt vmcnt(5)
	v_mul_f16_sdwa v78, v31, v62 dst_sel:DWORD dst_unused:UNUSED_PAD src0_sel:DWORD src1_sel:WORD_1
	s_waitcnt lgkmcnt(1)
	v_lshrrev_b32_e32 v79, 16, v32
	s_waitcnt vmcnt(4)
	v_mul_f16_sdwa v80, v32, v63 dst_sel:DWORD dst_unused:UNUSED_PAD src0_sel:DWORD src1_sel:WORD_1
	v_lshrrev_b32_e32 v81, 16, v33
	v_mul_f16_sdwa v85, v71, v59 dst_sel:DWORD dst_unused:UNUSED_PAD src0_sel:DWORD src1_sel:WORD_1
	v_fma_f16 v71, v71, v59, v72
	v_mul_f16_sdwa v72, v73, v60 dst_sel:DWORD dst_unused:UNUSED_PAD src0_sel:DWORD src1_sel:WORD_1
	s_waitcnt vmcnt(3)
	v_mul_f16_sdwa v82, v33, v64 dst_sel:DWORD dst_unused:UNUSED_PAD src0_sel:DWORD src1_sel:WORD_1
	v_fma_f16 v73, v73, v60, v74
	v_mul_f16_sdwa v74, v75, v61 dst_sel:DWORD dst_unused:UNUSED_PAD src0_sel:DWORD src1_sel:WORD_1
	v_fma_f16 v75, v75, v61, v76
	;; [unrolled: 2-line block ×4, first 2 shown]
	v_mul_f16_sdwa v80, v81, v64 dst_sel:DWORD dst_unused:UNUSED_PAD src0_sel:DWORD src1_sel:WORD_1
	v_fma_f16 v28, v28, v59, -v85
	v_fma_f16 v29, v29, v60, -v72
	v_fma_f16 v81, v81, v64, v82
	v_fma_f16 v30, v30, v61, -v74
	v_fma_f16 v31, v31, v62, -v76
	;; [unrolled: 1-line block ×4, first 2 shown]
	v_pack_b32_f16 v28, v28, v71
	v_pack_b32_f16 v29, v29, v73
	;; [unrolled: 1-line block ×6, first 2 shown]
	ds_write2_b32 v67, v28, v29 offset0:8 offset1:140
	ds_write2_b32 v68, v30, v31 offset0:16 offset1:148
	ds_write2_b32 v69, v32, v33 offset0:24 offset1:156
	ds_read_b32 v31, v36 offset:5280
	s_waitcnt lgkmcnt(4)
	v_lshrrev_b32_e32 v83, 16, v34
	v_lshrrev_b32_e32 v29, 16, v35
	s_waitcnt vmcnt(2)
	v_mul_f16_sdwa v84, v34, v49 dst_sel:DWORD dst_unused:UNUSED_PAD src0_sel:DWORD src1_sel:WORD_1
	v_mul_f16_sdwa v82, v83, v49 dst_sel:DWORD dst_unused:UNUSED_PAD src0_sel:DWORD src1_sel:WORD_1
	s_waitcnt vmcnt(1)
	v_mul_f16_sdwa v30, v29, v65 dst_sel:DWORD dst_unused:UNUSED_PAD src0_sel:DWORD src1_sel:WORD_1
	v_mul_f16_sdwa v32, v35, v65 dst_sel:DWORD dst_unused:UNUSED_PAD src0_sel:DWORD src1_sel:WORD_1
	v_fma_f16 v34, v34, v49, -v82
	v_fma_f16 v28, v83, v49, v84
	v_fma_f16 v30, v35, v65, -v30
	v_fma_f16 v29, v29, v65, v32
	v_pack_b32_f16 v28, v34, v28
	v_pack_b32_f16 v29, v30, v29
	ds_write2_b32 v70, v28, v29 offset0:32 offset1:164
	s_waitcnt lgkmcnt(1)
	v_lshrrev_b32_e32 v28, 16, v31
	s_waitcnt vmcnt(0)
	v_mul_f16_sdwa v29, v28, v66 dst_sel:DWORD dst_unused:UNUSED_PAD src0_sel:DWORD src1_sel:WORD_1
	v_mul_f16_sdwa v30, v31, v66 dst_sel:DWORD dst_unused:UNUSED_PAD src0_sel:DWORD src1_sel:WORD_1
	v_fma_f16 v29, v31, v66, -v29
	v_fma_f16 v28, v28, v66, v30
	v_pack_b32_f16 v28, v29, v28
	ds_write_b32 v36, v28 offset:5280
	s_waitcnt lgkmcnt(0)
	s_barrier
	ds_read2_b32 v[28:29], v36 offset1:132
	ds_read2_b32 v[30:31], v67 offset0:8 offset1:140
	ds_read2_b32 v[32:33], v68 offset0:16 offset1:148
	;; [unrolled: 1-line block ×4, first 2 shown]
	ds_read_b32 v49, v36 offset:5280
	s_waitcnt lgkmcnt(5)
	v_pk_add_f16 v61, v28, v29
	s_waitcnt lgkmcnt(4)
	v_pk_add_f16 v61, v61, v30
	v_pk_add_f16 v61, v61, v31
	s_waitcnt lgkmcnt(3)
	v_pk_add_f16 v61, v61, v32
	;; [unrolled: 3-line block ×5, first 2 shown]
	v_pk_add_f16 v29, v29, v49 neg_lo:[0,1] neg_hi:[0,1]
	v_pk_add_f16 v61, v61, v49
	v_pk_mul_f16 v49, v29, s16 op_sel_hi:[1,0]
	v_pk_add_f16 v79, v60, v30
	v_pk_add_f16 v30, v30, v60 neg_lo:[0,1] neg_hi:[0,1]
	v_pk_fma_f16 v63, v62, s14, v49 op_sel:[0,0,1] op_sel_hi:[1,0,0]
	v_pk_fma_f16 v64, v62, s14, v49 op_sel:[0,0,1] op_sel_hi:[1,0,0] neg_lo:[0,0,1] neg_hi:[0,0,1]
	v_pk_mul_f16 v60, v30, s17 op_sel_hi:[1,0]
	v_bfi_b32 v49, s0, v63, v64
	v_pk_fma_f16 v80, v79, s1, v60 op_sel:[0,0,1] op_sel_hi:[1,0,0]
	v_pk_fma_f16 v60, v79, s1, v60 op_sel:[0,0,1] op_sel_hi:[1,0,0] neg_lo:[0,0,1] neg_hi:[0,0,1]
	v_pk_add_f16 v49, v28, v49
	v_mul_f16_sdwa v65, v29, s17 dst_sel:DWORD dst_unused:UNUSED_PAD src0_sel:WORD_1 src1_sel:DWORD
	v_bfi_b32 v81, s0, v80, v60
	v_fma_f16 v66, v62, s1, v65
	v_pk_add_f16 v49, v81, v49
	v_mul_f16_sdwa v81, v30, s19 dst_sel:DWORD dst_unused:UNUSED_PAD src0_sel:WORD_1 src1_sel:DWORD
	v_add_f16_e32 v66, v28, v66
	v_mul_f16_sdwa v69, v62, s1 dst_sel:DWORD dst_unused:UNUSED_PAD src0_sel:WORD_1 src1_sel:DWORD
	v_fma_f16 v65, v62, s1, -v65
	v_fma_f16 v82, v79, s20, v81
	v_fma_f16 v70, v29, s12, v69
	v_add_f16_e32 v65, v28, v65
	v_fma_f16 v69, v29, s17, v69
	v_add_f16_e32 v66, v82, v66
	v_mul_f16_sdwa v82, v79, s20 dst_sel:DWORD dst_unused:UNUSED_PAD src0_sel:WORD_1 src1_sel:DWORD
	v_fma_f16 v81, v79, s20, -v81
	v_add_f16_sdwa v69, v28, v69 dst_sel:DWORD dst_unused:UNUSED_PAD src0_sel:WORD_1 src1_sel:DWORD
	v_mul_f16_sdwa v71, v29, s13 dst_sel:DWORD dst_unused:UNUSED_PAD src0_sel:WORD_1 src1_sel:DWORD
	v_add_f16_e32 v65, v81, v65
	v_fma_f16 v81, v30, s19, v82
	v_fma_f16 v72, v62, s15, v71
	v_add_f16_e32 v69, v81, v69
	v_mul_f16_sdwa v81, v30, s22 dst_sel:DWORD dst_unused:UNUSED_PAD src0_sel:WORD_1 src1_sel:DWORD
	v_add_f16_e32 v72, v28, v72
	v_mul_f16_sdwa v73, v62, s15 dst_sel:DWORD dst_unused:UNUSED_PAD src0_sel:WORD_1 src1_sel:DWORD
	v_fma_f16 v71, v62, s15, -v71
	v_fma_f16 v83, v30, s21, v82
	v_fma_f16 v82, v79, s23, v81
	;; [unrolled: 1-line block ×3, first 2 shown]
	v_add_f16_e32 v71, v28, v71
	v_fma_f16 v73, v29, s13, v73
	v_add_f16_e32 v72, v82, v72
	v_mul_f16_sdwa v82, v79, s23 dst_sel:DWORD dst_unused:UNUSED_PAD src0_sel:WORD_1 src1_sel:DWORD
	v_fma_f16 v81, v79, s23, -v81
	v_add_f16_sdwa v73, v28, v73 dst_sel:DWORD dst_unused:UNUSED_PAD src0_sel:WORD_1 src1_sel:DWORD
	v_mul_f16_sdwa v75, v29, s19 dst_sel:DWORD dst_unused:UNUSED_PAD src0_sel:WORD_1 src1_sel:DWORD
	v_add_f16_e32 v71, v81, v71
	v_fma_f16 v81, v30, s22, v82
	v_add_f16_sdwa v70, v28, v70 dst_sel:DWORD dst_unused:UNUSED_PAD src0_sel:WORD_1 src1_sel:DWORD
	v_fma_f16 v76, v62, s20, v75
	v_add_f16_e32 v73, v81, v73
	v_mul_f16_sdwa v81, v30, s18 dst_sel:DWORD dst_unused:UNUSED_PAD src0_sel:WORD_1 src1_sel:DWORD
	v_add_f16_e32 v76, v28, v76
	v_mul_f16_sdwa v77, v62, s20 dst_sel:DWORD dst_unused:UNUSED_PAD src0_sel:WORD_1 src1_sel:DWORD
	v_fma_f16 v75, v62, s20, -v75
	v_add_f16_e32 v70, v83, v70
	v_fma_f16 v83, v30, s24, v82
	v_fma_f16 v82, v79, s15, v81
	;; [unrolled: 1-line block ×3, first 2 shown]
	v_add_f16_e32 v75, v28, v75
	v_fma_f16 v77, v29, s19, v77
	v_add_f16_e32 v76, v82, v76
	v_mul_f16_sdwa v82, v79, s15 dst_sel:DWORD dst_unused:UNUSED_PAD src0_sel:WORD_1 src1_sel:DWORD
	v_fma_f16 v81, v79, s15, -v81
	v_add_f16_sdwa v77, v28, v77 dst_sel:DWORD dst_unused:UNUSED_PAD src0_sel:WORD_1 src1_sel:DWORD
	v_add_f16_e32 v75, v81, v75
	v_fma_f16 v81, v30, s18, v82
	v_add_f16_sdwa v74, v28, v74 dst_sel:DWORD dst_unused:UNUSED_PAD src0_sel:WORD_1 src1_sel:DWORD
	v_add_f16_e32 v77, v81, v77
	v_pk_add_f16 v81, v59, v31
	v_pk_add_f16 v31, v31, v59 neg_lo:[0,1] neg_hi:[0,1]
	v_add_f16_sdwa v78, v28, v78 dst_sel:DWORD dst_unused:UNUSED_PAD src0_sel:WORD_1 src1_sel:DWORD
	v_add_f16_e32 v74, v83, v74
	v_fma_f16 v83, v30, s13, v82
	v_pk_mul_f16 v59, v31, s13 op_sel_hi:[1,0]
	v_add_f16_e32 v78, v83, v78
	v_pk_fma_f16 v82, v81, s15, v59 op_sel:[0,0,1] op_sel_hi:[1,0,0]
	v_pk_fma_f16 v83, v81, s15, v59 op_sel:[0,0,1] op_sel_hi:[1,0,0] neg_lo:[0,0,1] neg_hi:[0,0,1]
	v_bfi_b32 v59, s0, v82, v83
	v_pk_add_f16 v49, v59, v49
	v_mul_f16_sdwa v59, v31, s22 dst_sel:DWORD dst_unused:UNUSED_PAD src0_sel:WORD_1 src1_sel:DWORD
	v_fma_f16 v84, v81, s23, v59
	v_add_f16_e32 v66, v84, v66
	v_mul_f16_sdwa v84, v81, s23 dst_sel:DWORD dst_unused:UNUSED_PAD src0_sel:WORD_1 src1_sel:DWORD
	v_fma_f16 v59, v81, s23, -v59
	v_add_f16_e32 v59, v59, v65
	v_fma_f16 v65, v31, s22, v84
	v_add_f16_e32 v65, v65, v69
	v_mul_f16_sdwa v69, v31, s12 dst_sel:DWORD dst_unused:UNUSED_PAD src0_sel:WORD_1 src1_sel:DWORD
	v_fma_f16 v85, v31, s24, v84
	v_fma_f16 v84, v81, s1, v69
	v_add_f16_e32 v72, v84, v72
	v_mul_f16_sdwa v84, v81, s1 dst_sel:DWORD dst_unused:UNUSED_PAD src0_sel:WORD_1 src1_sel:DWORD
	v_fma_f16 v69, v81, s1, -v69
	v_add_f16_e32 v69, v69, v71
	v_fma_f16 v71, v31, s12, v84
	v_add_f16_e32 v71, v71, v73
	v_mul_f16_sdwa v73, v31, s16 dst_sel:DWORD dst_unused:UNUSED_PAD src0_sel:WORD_1 src1_sel:DWORD
	v_add_f16_e32 v70, v85, v70
	v_fma_f16 v85, v31, s17, v84
	v_fma_f16 v84, v81, s14, v73
	v_add_f16_e32 v76, v84, v76
	v_mul_f16_sdwa v84, v81, s14 dst_sel:DWORD dst_unused:UNUSED_PAD src0_sel:WORD_1 src1_sel:DWORD
	v_fma_f16 v73, v81, s14, -v73
	v_add_f16_e32 v73, v73, v75
	v_fma_f16 v75, v31, s16, v84
	v_add_f16_e32 v75, v75, v77
	v_pk_add_f16 v77, v35, v32
	v_pk_add_f16 v32, v32, v35 neg_lo:[0,1] neg_hi:[0,1]
	v_pk_mul_f16 v35, v32, s19 op_sel_hi:[1,0]
	v_add_f16_e32 v74, v85, v74
	v_fma_f16 v85, v31, s25, v84
	v_pk_fma_f16 v84, v77, s20, v35 op_sel:[0,0,1] op_sel_hi:[1,0,0]
	v_pk_fma_f16 v35, v77, s20, v35 op_sel:[0,0,1] op_sel_hi:[1,0,0] neg_lo:[0,0,1] neg_hi:[0,0,1]
	v_add_f16_e32 v78, v85, v78
	v_bfi_b32 v85, s0, v84, v35
	v_pk_add_f16 v49, v85, v49
	v_mul_f16_sdwa v85, v32, s18 dst_sel:DWORD dst_unused:UNUSED_PAD src0_sel:WORD_1 src1_sel:DWORD
	v_fma_f16 v86, v77, s15, v85
	v_add_f16_e32 v66, v86, v66
	v_mul_f16_sdwa v86, v77, s15 dst_sel:DWORD dst_unused:UNUSED_PAD src0_sel:WORD_1 src1_sel:DWORD
	v_fma_f16 v85, v77, s15, -v85
	v_add_f16_e32 v59, v85, v59
	v_fma_f16 v85, v32, s18, v86
	v_add_f16_e32 v65, v85, v65
	v_mul_f16_sdwa v85, v32, s16 dst_sel:DWORD dst_unused:UNUSED_PAD src0_sel:WORD_1 src1_sel:DWORD
	v_fma_f16 v87, v32, s13, v86
	v_fma_f16 v86, v77, s14, v85
	v_add_f16_e32 v72, v86, v72
	v_mul_f16_sdwa v86, v77, s14 dst_sel:DWORD dst_unused:UNUSED_PAD src0_sel:WORD_1 src1_sel:DWORD
	v_fma_f16 v85, v77, s14, -v85
	v_add_f16_e32 v69, v85, v69
	v_fma_f16 v85, v32, s16, v86
	v_add_f16_e32 v71, v85, v71
	v_mul_f16_sdwa v85, v32, s24 dst_sel:DWORD dst_unused:UNUSED_PAD src0_sel:WORD_1 src1_sel:DWORD
	v_add_f16_e32 v70, v87, v70
	v_fma_f16 v87, v32, s25, v86
	v_fma_f16 v86, v77, s23, v85
	v_add_f16_e32 v76, v86, v76
	v_mul_f16_sdwa v86, v77, s23 dst_sel:DWORD dst_unused:UNUSED_PAD src0_sel:WORD_1 src1_sel:DWORD
	v_fma_f16 v85, v77, s23, -v85
	v_add_f16_e32 v73, v85, v73
	v_fma_f16 v85, v32, s24, v86
	v_add_f16_e32 v75, v85, v75
	v_pk_add_f16 v85, v34, v33
	v_pk_add_f16 v33, v33, v34 neg_lo:[0,1] neg_hi:[0,1]
	v_pk_mul_f16 v34, v33, s24 op_sel_hi:[1,0]
	v_add_f16_e32 v74, v87, v74
	v_fma_f16 v87, v32, s22, v86
	v_pk_fma_f16 v86, v85, s23, v34 op_sel:[0,0,1] op_sel_hi:[1,0,0]
	v_pk_fma_f16 v34, v85, s23, v34 op_sel:[0,0,1] op_sel_hi:[1,0,0] neg_lo:[0,0,1] neg_hi:[0,0,1]
	v_add_f16_e32 v78, v87, v78
	v_bfi_b32 v87, s0, v86, v34
	v_pk_add_f16 v87, v87, v49
	v_mul_f16_sdwa v49, v33, s25 dst_sel:DWORD dst_unused:UNUSED_PAD src0_sel:WORD_1 src1_sel:DWORD
	v_fma_f16 v88, v85, s14, v49
	v_add_f16_e32 v66, v88, v66
	v_mul_f16_sdwa v88, v85, s14 dst_sel:DWORD dst_unused:UNUSED_PAD src0_sel:WORD_1 src1_sel:DWORD
	v_fma_f16 v49, v85, s14, -v49
	v_add_f16_e32 v49, v49, v59
	v_fma_f16 v59, v33, s25, v88
	v_add_f16_e32 v59, v59, v65
	v_mul_f16_sdwa v65, v33, s19 dst_sel:DWORD dst_unused:UNUSED_PAD src0_sel:WORD_1 src1_sel:DWORD
	v_fma_f16 v89, v33, s16, v88
	v_fma_f16 v88, v85, s20, v65
	v_add_f16_e32 v72, v88, v72
	v_mul_f16_sdwa v88, v85, s20 dst_sel:DWORD dst_unused:UNUSED_PAD src0_sel:WORD_1 src1_sel:DWORD
	v_fma_f16 v65, v85, s20, -v65
	v_add_f16_e32 v65, v65, v69
	v_fma_f16 v69, v33, s19, v88
	v_add_f16_e32 v69, v69, v71
	v_mul_f16_sdwa v71, v33, s12 dst_sel:DWORD dst_unused:UNUSED_PAD src0_sel:WORD_1 src1_sel:DWORD
	v_add_f16_e32 v70, v89, v70
	v_fma_f16 v89, v33, s21, v88
	v_fma_f16 v88, v85, s1, v71
	v_add_f16_e32 v76, v88, v76
	v_mul_f16_sdwa v88, v85, s1 dst_sel:DWORD dst_unused:UNUSED_PAD src0_sel:WORD_1 src1_sel:DWORD
	v_add_f16_e32 v74, v89, v74
	v_fma_f16 v89, v33, s17, v88
	s_barrier
	v_add_f16_e32 v78, v89, v78
	ds_write2_b32 v50, v61, v87 offset1:1
	v_pack_b32_f16 v61, v72, v74
	v_pack_b32_f16 v66, v66, v70
	ds_write2_b32 v50, v66, v61 offset0:2 offset1:3
	v_pack_b32_f16 v61, v76, v78
	ds_write_b32 v50, v61 offset:16
	v_pk_mul_f16 v61, v62, s23 op_sel_hi:[1,0]
	v_pk_fma_f16 v62, v29, s24, v61 op_sel:[0,0,1] op_sel_hi:[1,0,0]
	v_pk_fma_f16 v29, v29, s24, v61 op_sel:[0,0,1] op_sel_hi:[1,0,0] neg_lo:[1,0,0] neg_hi:[1,0,0]
	v_alignbit_b32 v61, s0, v28, 16
	v_alignbit_b32 v66, s0, v62, 16
	v_pk_add_f16 v61, v61, v62
	v_pk_mul_f16 v62, v79, s14 op_sel_hi:[1,0]
	v_pk_add_f16 v29, v28, v29 op_sel:[1,0] op_sel_hi:[0,1]
	v_pk_fma_f16 v70, v30, s25, v62 op_sel:[0,0,1] op_sel_hi:[1,0,0]
	v_pk_fma_f16 v30, v30, s25, v62 op_sel:[0,0,1] op_sel_hi:[1,0,0] neg_lo:[1,0,0] neg_hi:[1,0,0]
	v_pk_add_f16 v29, v30, v29
	v_pk_add_f16 v30, v70, v61
	v_pk_mul_f16 v61, v81, s20 op_sel_hi:[1,0]
	v_pk_fma_f16 v62, v31, s19, v61 op_sel:[0,0,1] op_sel_hi:[1,0,0]
	v_pk_fma_f16 v31, v31, s19, v61 op_sel:[0,0,1] op_sel_hi:[1,0,0] neg_lo:[1,0,0] neg_hi:[1,0,0]
	v_pk_add_f16 v29, v31, v29
	v_pk_mul_f16 v31, v77, s1 op_sel_hi:[1,0]
	v_pk_add_f16 v66, v28, v66
	v_alignbit_b32 v72, s0, v70, 16
	v_pk_fma_f16 v61, v32, s12, v31 op_sel:[0,0,1] op_sel_hi:[1,0,0]
	v_pk_fma_f16 v31, v32, s12, v31 op_sel:[0,0,1] op_sel_hi:[1,0,0] neg_lo:[1,0,0] neg_hi:[1,0,0]
	v_pk_add_f16 v66, v72, v66
	v_alignbit_b32 v70, s0, v62, 16
	v_pk_add_f16 v29, v31, v29
	v_pk_mul_f16 v31, v85, s15 op_sel_hi:[1,0]
	v_pk_add_f16 v66, v70, v66
	v_pk_add_f16 v30, v62, v30
	v_alignbit_b32 v62, s0, v61, 16
	v_pk_fma_f16 v32, v33, s13, v31 op_sel:[0,0,1] op_sel_hi:[1,0,0]
	v_fma_f16 v71, v85, s1, -v71
	v_pk_add_f16 v62, v62, v66
	v_pk_add_f16 v30, v61, v30
	v_alignbit_b32 v61, s0, v32, 16
	v_pk_fma_f16 v31, v33, s13, v31 op_sel:[0,0,1] op_sel_hi:[1,0,0] neg_lo:[1,0,0] neg_hi:[1,0,0]
	v_add_f16_e32 v71, v71, v73
	v_fma_f16 v73, v33, s12, v88
	v_pk_add_f16 v61, v61, v62
	v_pk_add_f16 v29, v31, v29
	;; [unrolled: 1-line block ×3, first 2 shown]
	v_add_f16_e32 v73, v73, v75
	v_alignbit_b32 v30, v30, v29, 16
	v_pack_b32_f16 v29, v61, v29
	ds_write2_b32 v50, v29, v30 offset0:5 offset1:6
	v_pack_b32_f16 v29, v65, v69
	v_pack_b32_f16 v30, v71, v73
	ds_write2_b32 v50, v30, v29 offset0:7 offset1:8
	v_bfi_b32 v29, s0, v64, v63
	v_pk_add_f16 v28, v28, v29
	v_bfi_b32 v29, s0, v60, v80
	v_pk_add_f16 v28, v29, v28
	;; [unrolled: 2-line block ×5, first 2 shown]
	v_pack_b32_f16 v28, v49, v59
	v_add_u32_e32 v32, 0xe00, v36
	ds_write2_b32 v50, v28, v60 offset0:9 offset1:10
	s_waitcnt lgkmcnt(0)
	s_barrier
	ds_read2_b32 v[30:31], v36 offset1:132
	ds_read2_b32 v[28:29], v67 offset0:8 offset1:228
	ds_read2_b32 v[34:35], v32 offset0:72 offset1:204
	;; [unrolled: 1-line block ×3, first 2 shown]
	ds_read_b32 v50, v36 offset:4928
	v_lshrrev_b32_e32 v61, 16, v60
	s_and_saveexec_b64 s[0:1], s[2:3]
	s_cbranch_execz .LBB0_11
; %bb.10:
	ds_read_b32 v49, v36 offset:1584
	ds_read_b32 v60, v36 offset:3520
	;; [unrolled: 1-line block ×3, first 2 shown]
	s_waitcnt lgkmcnt(2)
	v_lshrrev_b32_e32 v59, 16, v49
	s_waitcnt lgkmcnt(1)
	v_lshrrev_b32_e32 v61, 16, v60
	s_waitcnt lgkmcnt(0)
	v_lshrrev_b32_e32 v58, 16, v57
.LBB0_11:
	s_or_b64 exec, exec, s[0:1]
	s_waitcnt lgkmcnt(3)
	v_lshrrev_b32_e32 v63, 16, v29
	v_mul_f16_sdwa v71, v18, v63 dst_sel:DWORD dst_unused:UNUSED_PAD src0_sel:WORD_1 src1_sel:DWORD
	s_waitcnt lgkmcnt(2)
	v_lshrrev_b32_e32 v64, 16, v34
	v_fma_f16 v71, v18, v29, v71
	v_mul_f16_sdwa v29, v18, v29 dst_sel:DWORD dst_unused:UNUSED_PAD src0_sel:WORD_1 src1_sel:DWORD
	v_fma_f16 v18, v18, v63, -v29
	v_mul_f16_sdwa v29, v19, v64 dst_sel:DWORD dst_unused:UNUSED_PAD src0_sel:WORD_1 src1_sel:DWORD
	s_waitcnt lgkmcnt(1)
	v_lshrrev_b32_e32 v66, 16, v32
	v_fma_f16 v29, v19, v34, v29
	v_mul_f16_sdwa v34, v19, v34 dst_sel:DWORD dst_unused:UNUSED_PAD src0_sel:WORD_1 src1_sel:DWORD
	v_fma_f16 v19, v19, v64, -v34
	v_mul_f16_sdwa v34, v20, v66 dst_sel:DWORD dst_unused:UNUSED_PAD src0_sel:WORD_1 src1_sel:DWORD
	v_lshrrev_b32_e32 v67, 16, v35
	v_fma_f16 v34, v20, v32, v34
	v_mul_f16_sdwa v32, v20, v32 dst_sel:DWORD dst_unused:UNUSED_PAD src0_sel:WORD_1 src1_sel:DWORD
	v_fma_f16 v32, v20, v66, -v32
	v_mul_f16_sdwa v20, v21, v67 dst_sel:DWORD dst_unused:UNUSED_PAD src0_sel:WORD_1 src1_sel:DWORD
	;; [unrolled: 5-line block ×3, first 2 shown]
	s_waitcnt lgkmcnt(0)
	v_lshrrev_b32_e32 v70, 16, v50
	v_fma_f16 v64, v22, v33, v20
	v_mul_f16_sdwa v20, v22, v33 dst_sel:DWORD dst_unused:UNUSED_PAD src0_sel:WORD_1 src1_sel:DWORD
	v_fma_f16 v33, v22, v69, -v20
	v_mul_f16_sdwa v20, v23, v70 dst_sel:DWORD dst_unused:UNUSED_PAD src0_sel:WORD_1 src1_sel:DWORD
	v_fma_f16 v66, v23, v50, v20
	v_mul_f16_sdwa v20, v23, v50 dst_sel:DWORD dst_unused:UNUSED_PAD src0_sel:WORD_1 src1_sel:DWORD
	v_fma_f16 v50, v23, v70, -v20
	v_mul_f16_sdwa v20, v24, v61 dst_sel:DWORD dst_unused:UNUSED_PAD src0_sel:WORD_1 src1_sel:DWORD
	v_mul_f16_sdwa v21, v24, v60 dst_sel:DWORD dst_unused:UNUSED_PAD src0_sel:WORD_1 src1_sel:DWORD
	v_fma_f16 v20, v24, v60, v20
	v_fma_f16 v22, v24, v61, -v21
	v_mul_f16_sdwa v21, v25, v58 dst_sel:DWORD dst_unused:UNUSED_PAD src0_sel:WORD_1 src1_sel:DWORD
	v_add_f16_e32 v24, v30, v71
	v_fma_f16 v21, v25, v57, v21
	v_mul_f16_sdwa v23, v25, v57 dst_sel:DWORD dst_unused:UNUSED_PAD src0_sel:WORD_1 src1_sel:DWORD
	v_add_f16_e32 v57, v24, v29
	v_add_f16_e32 v24, v71, v29
	v_lshrrev_b32_e32 v62, 16, v30
	v_fma_f16 v23, v25, v58, -v23
	v_fma_f16 v24, v24, -0.5, v30
	v_sub_f16_e32 v25, v18, v19
	s_mov_b32 s0, 0xbaee
	s_movk_i32 s1, 0x3aee
	v_fma_f16 v30, v25, s0, v24
	v_fma_f16 v58, v25, s1, v24
	v_add_f16_e32 v24, v62, v18
	v_add_f16_e32 v18, v18, v19
	;; [unrolled: 1-line block ×3, first 2 shown]
	v_fma_f16 v18, v18, -0.5, v62
	v_sub_f16_e32 v19, v71, v29
	v_fma_f16 v61, v19, s1, v18
	v_fma_f16 v62, v19, s0, v18
	v_add_f16_e32 v18, v31, v34
	v_add_f16_e32 v67, v18, v63
	;; [unrolled: 1-line block ×3, first 2 shown]
	v_lshrrev_b32_e32 v65, 16, v31
	v_fma_f16 v18, v18, -0.5, v31
	v_sub_f16_e32 v19, v32, v35
	v_fma_f16 v31, v19, s0, v18
	v_fma_f16 v69, v19, s1, v18
	v_add_f16_e32 v18, v65, v32
	v_add_f16_e32 v70, v18, v35
	;; [unrolled: 1-line block ×3, first 2 shown]
	v_fma_f16 v18, v18, -0.5, v65
	v_sub_f16_e32 v19, v34, v63
	v_fma_f16 v32, v19, s1, v18
	v_fma_f16 v34, v19, s0, v18
	v_add_f16_e32 v18, v28, v64
	v_add_f16_e32 v35, v18, v66
	;; [unrolled: 1-line block ×3, first 2 shown]
	v_lshrrev_b32_e32 v68, 16, v28
	v_fma_f16 v18, v18, -0.5, v28
	v_sub_f16_e32 v19, v33, v50
	v_fma_f16 v63, v19, s0, v18
	v_fma_f16 v65, v19, s1, v18
	v_add_f16_e32 v18, v68, v33
	v_pack_b32_f16 v57, v57, v60
	v_pack_b32_f16 v30, v30, v61
	v_add_f16_e32 v71, v18, v50
	v_add_f16_e32 v18, v33, v50
	s_barrier
	ds_write2_b32 v53, v57, v30 offset1:11
	v_pack_b32_f16 v30, v58, v62
	v_fma_f16 v18, v18, -0.5, v68
	v_sub_f16_e32 v19, v64, v66
	ds_write_b32 v53, v30 offset:88
	v_pack_b32_f16 v30, v67, v70
	v_pack_b32_f16 v31, v31, v32
	v_fma_f16 v33, v19, s1, v18
	v_fma_f16 v50, v19, s0, v18
	v_add_f16_e32 v18, v21, v20
	v_add_f16_e32 v19, v23, v22
	ds_write2_b32 v54, v30, v31 offset1:11
	v_pack_b32_f16 v30, v69, v34
	v_fma_f16 v24, v18, -0.5, v49
	v_sub_f16_e32 v25, v22, v23
	v_fma_f16 v28, v19, -0.5, v59
	v_sub_f16_e32 v29, v20, v21
	ds_write_b32 v54, v30 offset:88
	v_pack_b32_f16 v30, v35, v71
	v_pack_b32_f16 v31, v63, v33
	v_fma_f16 v18, v25, s1, v24
	v_fma_f16 v19, v29, s0, v28
	ds_write2_b32 v55, v30, v31 offset1:11
	v_pack_b32_f16 v30, v65, v50
	ds_write_b32 v55, v30 offset:88
	s_and_saveexec_b64 s[0:1], s[2:3]
	s_cbranch_execz .LBB0_13
; %bb.12:
	v_mul_f16_e32 v25, 0x3aee, v25
	v_mul_f16_e32 v29, 0x3aee, v29
	v_add_f16_e32 v22, v22, v59
	v_add_f16_e32 v20, v49, v20
	;; [unrolled: 1-line block ×3, first 2 shown]
	v_sub_f16_e32 v24, v24, v25
	v_add_f16_e32 v22, v23, v22
	v_add_f16_e32 v20, v21, v20
	v_mad_legacy_u16 v21, v51, 33, v52
	v_lshlrev_b32_e32 v21, 2, v21
	v_pack_b32_f16 v20, v20, v22
	v_pack_b32_f16 v22, v24, v28
	s_mov_b32 s2, 0x5040100
	ds_write2_b32 v21, v20, v22 offset1:11
	v_perm_b32 v20, v19, v18, s2
	ds_write_b32 v21, v20 offset:88
.LBB0_13:
	s_or_b64 exec, exec, s[0:1]
	s_waitcnt lgkmcnt(0)
	s_barrier
	ds_read2_b32 v[20:21], v36 offset1:132
	v_add_u32_e32 v32, 0x400, v36
	ds_read2_b32 v[22:23], v32 offset0:8 offset1:140
	v_add_u32_e32 v24, 0x800, v36
	ds_read2_b32 v[24:25], v24 offset0:16 offset1:148
	s_waitcnt lgkmcnt(2)
	v_lshrrev_b32_e32 v33, 16, v21
	v_mul_f16_sdwa v59, v0, v33 dst_sel:DWORD dst_unused:UNUSED_PAD src0_sel:WORD_1 src1_sel:DWORD
	s_waitcnt lgkmcnt(1)
	v_lshrrev_b32_e32 v34, 16, v22
	v_fma_f16 v59, v0, v21, v59
	v_mul_f16_sdwa v21, v0, v21 dst_sel:DWORD dst_unused:UNUSED_PAD src0_sel:WORD_1 src1_sel:DWORD
	v_fma_f16 v0, v0, v33, -v21
	v_mul_f16_sdwa v21, v1, v34 dst_sel:DWORD dst_unused:UNUSED_PAD src0_sel:WORD_1 src1_sel:DWORD
	v_lshrrev_b32_e32 v35, 16, v23
	v_add_u32_e32 v28, 0xc00, v36
	v_fma_f16 v21, v1, v22, v21
	v_mul_f16_sdwa v22, v1, v22 dst_sel:DWORD dst_unused:UNUSED_PAD src0_sel:WORD_1 src1_sel:DWORD
	ds_read2_b32 v[28:29], v28 offset0:24 offset1:156
	v_fma_f16 v1, v1, v34, -v22
	v_mul_f16_sdwa v22, v2, v35 dst_sel:DWORD dst_unused:UNUSED_PAD src0_sel:WORD_1 src1_sel:DWORD
	s_waitcnt lgkmcnt(1)
	v_lshrrev_b32_e32 v49, 16, v24
	v_fma_f16 v22, v2, v23, v22
	v_mul_f16_sdwa v23, v2, v23 dst_sel:DWORD dst_unused:UNUSED_PAD src0_sel:WORD_1 src1_sel:DWORD
	v_fma_f16 v2, v2, v35, -v23
	v_mul_f16_sdwa v23, v3, v49 dst_sel:DWORD dst_unused:UNUSED_PAD src0_sel:WORD_1 src1_sel:DWORD
	v_add_u32_e32 v50, 0x1000, v36
	v_lshrrev_b32_e32 v51, 16, v25
	v_fma_f16 v23, v3, v24, v23
	v_mul_f16_sdwa v24, v3, v24 dst_sel:DWORD dst_unused:UNUSED_PAD src0_sel:WORD_1 src1_sel:DWORD
	ds_read2_b32 v[30:31], v50 offset0:32 offset1:164
	v_fma_f16 v3, v3, v49, -v24
	v_mul_f16_sdwa v24, v4, v51 dst_sel:DWORD dst_unused:UNUSED_PAD src0_sel:WORD_1 src1_sel:DWORD
	s_waitcnt lgkmcnt(1)
	v_lshrrev_b32_e32 v53, 16, v28
	v_fma_f16 v24, v4, v25, v24
	v_mul_f16_sdwa v25, v4, v25 dst_sel:DWORD dst_unused:UNUSED_PAD src0_sel:WORD_1 src1_sel:DWORD
	v_fma_f16 v4, v4, v51, -v25
	v_mul_f16_sdwa v25, v5, v53 dst_sel:DWORD dst_unused:UNUSED_PAD src0_sel:WORD_1 src1_sel:DWORD
	v_lshrrev_b32_e32 v54, 16, v29
	v_fma_f16 v25, v5, v28, v25
	v_mul_f16_sdwa v28, v5, v28 dst_sel:DWORD dst_unused:UNUSED_PAD src0_sel:WORD_1 src1_sel:DWORD
	ds_read_b32 v52, v36 offset:5280
	v_fma_f16 v5, v5, v53, -v28
	v_mul_f16_sdwa v28, v6, v54 dst_sel:DWORD dst_unused:UNUSED_PAD src0_sel:WORD_1 src1_sel:DWORD
	s_waitcnt lgkmcnt(1)
	v_lshrrev_b32_e32 v55, 16, v30
	v_fma_f16 v28, v6, v29, v28
	v_mul_f16_sdwa v29, v6, v29 dst_sel:DWORD dst_unused:UNUSED_PAD src0_sel:WORD_1 src1_sel:DWORD
	v_fma_f16 v6, v6, v54, -v29
	v_mul_f16_sdwa v29, v7, v55 dst_sel:DWORD dst_unused:UNUSED_PAD src0_sel:WORD_1 src1_sel:DWORD
	v_lshrrev_b32_e32 v57, 16, v31
	v_fma_f16 v29, v7, v30, v29
	v_mul_f16_sdwa v30, v7, v30 dst_sel:DWORD dst_unused:UNUSED_PAD src0_sel:WORD_1 src1_sel:DWORD
	v_fma_f16 v7, v7, v55, -v30
	v_mul_f16_sdwa v30, v26, v57 dst_sel:DWORD dst_unused:UNUSED_PAD src0_sel:WORD_1 src1_sel:DWORD
	s_waitcnt lgkmcnt(0)
	v_lshrrev_b32_e32 v58, 16, v52
	v_fma_f16 v30, v26, v31, v30
	v_mul_f16_sdwa v31, v26, v31 dst_sel:DWORD dst_unused:UNUSED_PAD src0_sel:WORD_1 src1_sel:DWORD
	v_fma_f16 v26, v26, v57, -v31
	v_mul_f16_sdwa v31, v27, v58 dst_sel:DWORD dst_unused:UNUSED_PAD src0_sel:WORD_1 src1_sel:DWORD
	v_mul_f16_sdwa v33, v27, v52 dst_sel:DWORD dst_unused:UNUSED_PAD src0_sel:WORD_1 src1_sel:DWORD
	v_fma_f16 v31, v27, v52, v31
	v_fma_f16 v27, v27, v58, -v33
	v_add_f16_e32 v33, v20, v59
	v_add_f16_sdwa v34, v20, v0 dst_sel:DWORD dst_unused:UNUSED_PAD src0_sel:WORD_1 src1_sel:DWORD
	v_add_f16_e32 v33, v33, v21
	v_add_f16_e32 v34, v34, v1
	;; [unrolled: 1-line block ×17, first 2 shown]
	v_sub_f16_e32 v0, v0, v27
	v_add_f16_e32 v33, v33, v31
	v_add_f16_e32 v34, v34, v27
	;; [unrolled: 1-line block ×3, first 2 shown]
	v_sub_f16_e32 v31, v59, v31
	s_mov_b32 s13, 0xb853
	v_mul_f16_e32 v27, 0xb853, v0
	v_mul_f16_e32 v52, 0x3abb, v49
	s_movk_i32 s15, 0x3853
	s_mov_b32 s1, 0xbb47
	v_mul_f16_e32 v54, 0xbb47, v0
	s_movk_i32 s2, 0x36a6
	v_mul_f16_e32 v57, 0x36a6, v49
	s_movk_i32 s3, 0x3b47
	s_mov_b32 s0, 0xbbeb
	v_mul_f16_e32 v59, 0xbbeb, v0
	s_mov_b32 s12, 0xb08e
	v_mul_f16_e32 v61, 0xb08e, v49
	s_movk_i32 s16, 0x3beb
	s_mov_b32 s17, 0xba0c
	v_mul_f16_e32 v63, 0xba0c, v0
	s_mov_b32 s18, 0xb93d
	v_mul_f16_e32 v65, 0xb93d, v49
	s_movk_i32 s19, 0x3a0c
	s_mov_b32 s20, 0xb482
	v_mul_f16_e32 v0, 0xb482, v0
	s_mov_b32 s21, 0xbbad
	v_mul_f16_e32 v49, 0xbbad, v49
	v_fma_f16 v51, v35, s14, v27
	v_fma_f16 v53, v31, s15, v52
	v_fma_f16 v27, v35, s14, -v27
	v_fma_f16 v52, v31, s13, v52
	v_fma_f16 v55, v35, s2, v54
	v_fma_f16 v58, v31, s3, v57
	v_fma_f16 v54, v35, s2, -v54
	v_fma_f16 v57, v31, s1, v57
	;; [unrolled: 4-line block ×5, first 2 shown]
	v_add_f16_e32 v35, v1, v26
	v_sub_f16_e32 v1, v1, v26
	v_add_f16_e32 v51, v20, v51
	v_add_f16_sdwa v53, v20, v53 dst_sel:DWORD dst_unused:UNUSED_PAD src0_sel:WORD_1 src1_sel:DWORD
	v_add_f16_e32 v27, v20, v27
	v_add_f16_sdwa v52, v20, v52 dst_sel:DWORD dst_unused:UNUSED_PAD src0_sel:WORD_1 src1_sel:DWORD
	;; [unrolled: 2-line block ×10, first 2 shown]
	v_add_f16_e32 v31, v21, v30
	v_mul_f16_e32 v26, 0xbb47, v1
	v_sub_f16_e32 v21, v21, v30
	v_fma_f16 v30, v31, s2, v26
	v_mul_f16_e32 v49, 0x36a6, v35
	v_fma_f16 v26, v31, s2, -v26
	v_add_f16_e32 v30, v30, v51
	v_fma_f16 v51, v21, s3, v49
	v_add_f16_e32 v26, v26, v27
	v_fma_f16 v27, v21, s1, v49
	v_mul_f16_e32 v49, 0xba0c, v1
	v_add_f16_e32 v51, v51, v53
	v_add_f16_e32 v27, v27, v52
	v_fma_f16 v52, v31, s18, v49
	v_mul_f16_e32 v53, 0xb93d, v35
	v_fma_f16 v49, v31, s18, -v49
	v_add_f16_e32 v52, v52, v55
	v_fma_f16 v55, v21, s19, v53
	v_add_f16_e32 v49, v49, v54
	v_fma_f16 v53, v21, s17, v53
	v_mul_f16_e32 v54, 0x3482, v1
	v_add_f16_e32 v55, v55, v58
	v_add_f16_e32 v53, v53, v57
	;; [unrolled: 10-line block ×3, first 2 shown]
	v_fma_f16 v61, v31, s12, v59
	v_mul_f16_e32 v62, 0xb08e, v35
	v_fma_f16 v59, v31, s12, -v59
	v_mul_f16_e32 v1, 0x3853, v1
	v_add_f16_e32 v61, v61, v64
	v_fma_f16 v64, v21, s0, v62
	v_add_f16_e32 v59, v59, v63
	v_fma_f16 v62, v21, s16, v62
	v_fma_f16 v63, v31, s14, v1
	v_mul_f16_e32 v35, 0x3abb, v35
	v_fma_f16 v1, v31, s14, -v1
	v_add_f16_e32 v62, v62, v65
	v_fma_f16 v65, v21, s13, v35
	v_add_f16_e32 v0, v1, v0
	v_fma_f16 v1, v21, s15, v35
	v_add_f16_e32 v21, v2, v7
	v_sub_f16_e32 v2, v2, v7
	v_add_f16_e32 v1, v1, v20
	v_add_f16_e32 v20, v22, v29
	v_mul_f16_e32 v7, 0xbbeb, v2
	v_sub_f16_e32 v22, v22, v29
	v_fma_f16 v29, v20, s12, v7
	v_add_f16_e32 v29, v29, v30
	v_mul_f16_e32 v30, 0xb08e, v21
	v_fma_f16 v7, v20, s12, -v7
	v_add_f16_e32 v7, v7, v26
	v_fma_f16 v26, v22, s0, v30
	v_add_f16_e32 v26, v26, v27
	v_mul_f16_e32 v27, 0x3482, v2
	v_fma_f16 v31, v22, s16, v30
	v_fma_f16 v30, v20, s21, v27
	v_fma_f16 v27, v20, s21, -v27
	v_mul_f16_e32 v35, 0xbbad, v21
	v_add_f16_e32 v27, v27, v49
	v_mul_f16_e32 v49, 0x3b47, v2
	v_add_f16_e32 v31, v31, v51
	v_add_f16_e32 v30, v30, v52
	v_fma_f16 v51, v22, s20, v35
	v_fma_f16 v35, v22, s22, v35
	;; [unrolled: 1-line block ×3, first 2 shown]
	v_fma_f16 v49, v20, s2, -v49
	v_add_f16_e32 v35, v35, v53
	v_mul_f16_e32 v53, 0x36a6, v21
	v_add_f16_e32 v49, v49, v54
	v_mul_f16_e32 v54, 0xb853, v2
	v_add_f16_e32 v51, v51, v55
	v_add_f16_e32 v52, v52, v57
	v_fma_f16 v55, v22, s1, v53
	v_fma_f16 v53, v22, s3, v53
	;; [unrolled: 1-line block ×3, first 2 shown]
	v_fma_f16 v54, v20, s14, -v54
	v_mul_f16_e32 v2, 0xba0c, v2
	v_add_f16_e32 v53, v53, v58
	v_mul_f16_e32 v58, 0x3abb, v21
	v_add_f16_e32 v54, v54, v59
	v_fma_f16 v59, v20, s18, v2
	v_mul_f16_e32 v21, 0xb93d, v21
	v_fma_f16 v2, v20, s18, -v2
	v_add_f16_e32 v0, v2, v0
	v_fma_f16 v2, v22, s17, v21
	v_add_f16_e32 v20, v3, v6
	v_sub_f16_e32 v3, v3, v6
	v_add_f16_e32 v1, v2, v1
	v_add_f16_e32 v2, v23, v28
	v_mul_f16_e32 v6, 0xba0c, v3
	v_add_f16_e32 v55, v55, v60
	v_add_f16_e32 v57, v57, v61
	v_fma_f16 v60, v22, s15, v58
	v_fma_f16 v58, v22, s13, v58
	;; [unrolled: 1-line block ×3, first 2 shown]
	v_sub_f16_e32 v21, v23, v28
	v_fma_f16 v22, v2, s18, v6
	v_mul_f16_e32 v23, 0xb93d, v20
	v_fma_f16 v6, v2, s18, -v6
	v_fma_f16 v28, v21, s19, v23
	v_add_f16_e32 v6, v6, v7
	v_fma_f16 v7, v21, s17, v23
	v_mul_f16_e32 v23, 0x3beb, v3
	v_add_f16_e32 v22, v22, v29
	v_add_f16_e32 v7, v7, v26
	v_fma_f16 v26, v2, s12, v23
	v_mul_f16_e32 v29, 0xb08e, v20
	v_fma_f16 v23, v2, s12, -v23
	v_add_f16_e32 v27, v23, v27
	v_fma_f16 v23, v21, s16, v29
	v_add_f16_e32 v26, v26, v30
	v_fma_f16 v30, v21, s0, v29
	v_add_f16_e32 v29, v23, v35
	v_mul_f16_e32 v23, 0xb853, v3
	v_add_f16_e32 v28, v28, v31
	v_fma_f16 v31, v2, s14, v23
	v_mul_f16_e32 v35, 0x3abb, v20
	v_fma_f16 v23, v2, s14, -v23
	v_add_f16_e32 v49, v23, v49
	v_fma_f16 v23, v21, s13, v35
	v_add_f16_e32 v30, v30, v51
	v_fma_f16 v51, v21, s15, v35
	v_add_f16_e32 v35, v23, v53
	v_mul_f16_e32 v23, 0xb482, v3
	v_add_f16_e32 v31, v31, v52
	v_fma_f16 v52, v2, s21, v23
	v_mul_f16_e32 v53, 0xbbad, v20
	v_fma_f16 v23, v2, s21, -v23
	v_add_f16_e32 v58, v58, v62
	v_add_f16_e32 v54, v23, v54
	v_fma_f16 v23, v21, s20, v53
	v_mul_f16_e32 v3, 0x3b47, v3
	v_add_f16_e32 v51, v51, v55
	v_fma_f16 v55, v21, s22, v53
	v_add_f16_e32 v53, v23, v58
	v_fma_f16 v23, v2, s2, v3
	v_mul_f16_e32 v20, 0x36a6, v20
	v_fma_f16 v2, v2, s2, -v3
	v_add_f16_e32 v63, v63, v67
	v_add_f16_e32 v0, v2, v0
	v_fma_f16 v2, v21, s3, v20
	v_add_f16_e32 v3, v4, v5
	v_sub_f16_e32 v4, v4, v5
	v_add_f16_e32 v64, v64, v66
	v_add_f16_e32 v59, v59, v63
	v_add_f16_e32 v1, v2, v1
	v_add_f16_e32 v2, v24, v25
	v_mul_f16_e32 v5, 0xb482, v4
	v_add_f16_e32 v60, v60, v64
	v_add_f16_e32 v52, v52, v57
	v_add_f16_e32 v57, v23, v59
	v_fma_f16 v23, v21, s1, v20
	v_sub_f16_e32 v59, v24, v25
	v_fma_f16 v20, v2, s21, v5
	v_mul_f16_e32 v21, 0xbbad, v3
	v_add_f16_e32 v65, v65, v68
	v_add_f16_e32 v55, v55, v60
	;; [unrolled: 1-line block ×3, first 2 shown]
	v_fma_f16 v20, v59, s22, v21
	v_fma_f16 v5, v2, s21, -v5
	v_add_f16_e32 v61, v61, v65
	v_add_f16_e32 v28, v20, v28
	;; [unrolled: 1-line block ×3, first 2 shown]
	v_fma_f16 v5, v59, s20, v21
	v_add_f16_e32 v58, v23, v61
	v_add_f16_e32 v23, v5, v7
	v_mul_f16_e32 v5, 0x3853, v4
	v_mul_f16_e32 v7, 0x3abb, v3
	v_fma_f16 v6, v2, s14, v5
	v_fma_f16 v21, v59, s13, v7
	v_fma_f16 v5, v2, s14, -v5
	v_add_f16_e32 v6, v6, v26
	v_add_f16_e32 v26, v21, v30
	;; [unrolled: 1-line block ×3, first 2 shown]
	v_fma_f16 v5, v59, s15, v7
	v_add_f16_e32 v25, v5, v29
	v_mul_f16_e32 v5, 0xba0c, v4
	v_mul_f16_e32 v24, 0xb93d, v3
	v_fma_f16 v7, v2, s18, v5
	v_fma_f16 v22, v59, s19, v24
	v_fma_f16 v5, v2, s18, -v5
	v_add_f16_e32 v27, v22, v51
	v_add_f16_e32 v22, v5, v49
	v_fma_f16 v5, v59, s17, v24
	v_add_f16_e32 v24, v5, v35
	v_mul_f16_e32 v5, 0x3b47, v4
	v_mul_f16_e32 v4, 0xbbeb, v4
	v_fma_f16 v29, v2, s2, v5
	v_mul_f16_e32 v30, 0x36a6, v3
	v_fma_f16 v5, v2, s2, -v5
	v_fma_f16 v35, v2, s12, v4
	v_mul_f16_e32 v3, 0xb08e, v3
	v_fma_f16 v2, v2, s12, -v4
	v_add_f16_e32 v0, v2, v0
	v_fma_f16 v2, v59, s0, v3
	v_add_f16_e32 v7, v7, v31
	v_fma_f16 v31, v59, s1, v30
	v_fma_f16 v30, v59, s3, v30
	;; [unrolled: 1-line block ×3, first 2 shown]
	v_add_f16_e32 v1, v2, v1
	v_pack_b32_f16 v2, v33, v34
	v_pack_b32_f16 v3, v60, v28
	v_add_f16_e32 v29, v29, v52
	v_add_f16_e32 v31, v31, v55
	;; [unrolled: 1-line block ×6, first 2 shown]
	s_barrier
	ds_write2_b32 v56, v2, v3 offset1:33
	v_pack_b32_f16 v2, v6, v26
	v_pack_b32_f16 v3, v7, v27
	ds_write2_b32 v56, v2, v3 offset0:66 offset1:99
	v_pack_b32_f16 v2, v29, v31
	v_pack_b32_f16 v3, v35, v49
	;; [unrolled: 1-line block ×4, first 2 shown]
	ds_write2_b32 v56, v2, v3 offset0:132 offset1:165
	ds_write2_b32 v56, v0, v1 offset0:198 offset1:231
	v_pack_b32_f16 v0, v22, v24
	v_pack_b32_f16 v1, v21, v25
	v_add_u32_e32 v2, 0x400, v56
	ds_write2_b32 v2, v0, v1 offset0:8 offset1:41
	v_pack_b32_f16 v0, v20, v23
	v_add_u32_e32 v2, 0xa00, v36
	ds_write_b32 v56, v0 offset:1320
	s_waitcnt lgkmcnt(0)
	s_barrier
	ds_read2_b32 v[0:1], v36 offset1:132
	ds_read2_b32 v[4:5], v32 offset0:107 offset1:239
	ds_read2_b32 v[6:7], v2 offset0:86 offset1:218
	;; [unrolled: 1-line block ×3, first 2 shown]
	s_and_saveexec_b64 s[0:1], s[4:5]
	s_cbranch_execz .LBB0_15
; %bb.14:
	ds_read_b32 v22, v36 offset:1056
	ds_read_b32 v21, v36 offset:2508
	;; [unrolled: 1-line block ×4, first 2 shown]
	s_waitcnt lgkmcnt(3)
	v_lshrrev_b32_e32 v24, 16, v22
	s_waitcnt lgkmcnt(2)
	v_lshrrev_b32_e32 v25, 16, v21
	;; [unrolled: 2-line block ×4, first 2 shown]
.LBB0_15:
	s_or_b64 exec, exec, s[0:1]
	s_waitcnt lgkmcnt(2)
	v_lshrrev_b32_e32 v27, 16, v4
	v_mul_f16_sdwa v34, v11, v27 dst_sel:DWORD dst_unused:UNUSED_PAD src0_sel:WORD_1 src1_sel:DWORD
	s_waitcnt lgkmcnt(1)
	v_lshrrev_b32_e32 v28, 16, v6
	v_fma_f16 v34, v11, v4, v34
	v_mul_f16_sdwa v4, v11, v4 dst_sel:DWORD dst_unused:UNUSED_PAD src0_sel:WORD_1 src1_sel:DWORD
	v_fma_f16 v4, v11, v27, -v4
	v_mul_f16_sdwa v11, v12, v28 dst_sel:DWORD dst_unused:UNUSED_PAD src0_sel:WORD_1 src1_sel:DWORD
	s_waitcnt lgkmcnt(0)
	v_lshrrev_b32_e32 v29, 16, v2
	v_fma_f16 v11, v12, v6, v11
	v_mul_f16_sdwa v6, v12, v6 dst_sel:DWORD dst_unused:UNUSED_PAD src0_sel:WORD_1 src1_sel:DWORD
	v_fma_f16 v6, v12, v28, -v6
	v_mul_f16_sdwa v12, v13, v29 dst_sel:DWORD dst_unused:UNUSED_PAD src0_sel:WORD_1 src1_sel:DWORD
	v_lshrrev_b32_e32 v31, 16, v5
	v_fma_f16 v12, v13, v2, v12
	v_mul_f16_sdwa v2, v13, v2 dst_sel:DWORD dst_unused:UNUSED_PAD src0_sel:WORD_1 src1_sel:DWORD
	v_fma_f16 v2, v13, v29, -v2
	v_mul_f16_sdwa v13, v14, v31 dst_sel:DWORD dst_unused:UNUSED_PAD src0_sel:WORD_1 src1_sel:DWORD
	;; [unrolled: 5-line block ×4, first 2 shown]
	v_fma_f16 v15, v16, v3, v15
	v_mul_f16_sdwa v3, v16, v3 dst_sel:DWORD dst_unused:UNUSED_PAD src0_sel:WORD_1 src1_sel:DWORD
	v_lshrrev_b32_e32 v26, 16, v0
	v_lshrrev_b32_e32 v30, 16, v1
	v_fma_f16 v3, v16, v33, -v3
	v_sub_f16_e32 v11, v0, v11
	v_sub_f16_e32 v6, v26, v6
	;; [unrolled: 1-line block ×8, first 2 shown]
	v_fma_f16 v0, v0, 2.0, -v11
	v_fma_f16 v16, v26, 2.0, -v6
	;; [unrolled: 1-line block ×8, first 2 shown]
	v_sub_f16_e32 v26, v0, v26
	v_sub_f16_e32 v4, v16, v4
	v_add_f16_e32 v2, v11, v2
	v_sub_f16_e32 v12, v6, v12
	v_sub_f16_e32 v13, v1, v13
	;; [unrolled: 1-line block ×3, first 2 shown]
	v_fma_f16 v0, v0, 2.0, -v26
	v_fma_f16 v16, v16, 2.0, -v4
	v_fma_f16 v11, v11, 2.0, -v2
	v_fma_f16 v6, v6, 2.0, -v12
	v_fma_f16 v1, v1, 2.0, -v13
	v_fma_f16 v27, v27, 2.0, -v5
	v_add_f16_e32 v3, v14, v3
	v_sub_f16_e32 v15, v7, v15
	v_fma_f16 v14, v14, 2.0, -v3
	v_fma_f16 v7, v7, 2.0, -v15
	v_pack_b32_f16 v0, v0, v16
	v_pack_b32_f16 v6, v11, v6
	;; [unrolled: 1-line block ×5, first 2 shown]
	ds_write_b32 v36, v6 offset:1452
	ds_write_b32 v36, v4 offset:2904
	;; [unrolled: 1-line block ×3, first 2 shown]
	ds_write2_b32 v36, v0, v1 offset1:132
	v_pack_b32_f16 v0, v14, v7
	ds_write_b32 v36, v0 offset:1980
	v_pack_b32_f16 v0, v13, v5
	ds_write_b32 v36, v0 offset:3432
	;; [unrolled: 2-line block ×3, first 2 shown]
	s_and_saveexec_b64 s[0:1], s[4:5]
	s_cbranch_execz .LBB0_17
; %bb.16:
	v_mul_f16_sdwa v0, v9, v23 dst_sel:DWORD dst_unused:UNUSED_PAD src0_sel:WORD_1 src1_sel:DWORD
	v_mul_f16_sdwa v1, v8, v21 dst_sel:DWORD dst_unused:UNUSED_PAD src0_sel:WORD_1 src1_sel:DWORD
	v_mul_f16_sdwa v2, v10, v18 dst_sel:DWORD dst_unused:UNUSED_PAD src0_sel:WORD_1 src1_sel:DWORD
	v_mul_f16_sdwa v5, v9, v20 dst_sel:DWORD dst_unused:UNUSED_PAD src0_sel:WORD_1 src1_sel:DWORD
	v_mul_f16_sdwa v6, v8, v25 dst_sel:DWORD dst_unused:UNUSED_PAD src0_sel:WORD_1 src1_sel:DWORD
	v_mul_f16_sdwa v7, v10, v19 dst_sel:DWORD dst_unused:UNUSED_PAD src0_sel:WORD_1 src1_sel:DWORD
	v_fma_f16 v0, v9, v20, v0
	v_fma_f16 v1, v8, v25, -v1
	v_fma_f16 v2, v10, v19, -v2
	;; [unrolled: 1-line block ×3, first 2 shown]
	v_fma_f16 v6, v8, v21, v6
	v_fma_f16 v7, v10, v18, v7
	v_sub_f16_e32 v0, v22, v0
	v_sub_f16_e32 v2, v1, v2
	;; [unrolled: 1-line block ×4, first 2 shown]
	v_add_f16_e32 v3, v0, v2
	v_sub_f16_e32 v8, v5, v7
	v_fma_f16 v4, v0, 2.0, -v3
	v_fma_f16 v9, v5, 2.0, -v8
	;; [unrolled: 1-line block ×6, first 2 shown]
	v_sub_f16_e32 v6, v0, v6
	v_sub_f16_e32 v1, v5, v1
	v_fma_f16 v0, v0, 2.0, -v6
	v_fma_f16 v2, v5, 2.0, -v1
	v_pack_b32_f16 v0, v0, v2
	ds_write_b32 v36, v0 offset:1056
	v_pack_b32_f16 v0, v4, v9
	ds_write_b32 v36, v0 offset:2508
	;; [unrolled: 2-line block ×4, first 2 shown]
.LBB0_17:
	s_or_b64 exec, exec, s[0:1]
	s_waitcnt lgkmcnt(0)
	s_barrier
	ds_read2_b32 v[0:1], v36 offset1:132
	s_mov_b32 s2, 0x3a88d0c0
	s_mov_b32 s3, 0x3f469147
	v_mad_u64_u32 v[4:5], s[0:1], s10, v17, 0
	s_waitcnt lgkmcnt(0)
	v_lshrrev_b32_e32 v7, 16, v0
	v_mul_f16_sdwa v2, v48, v7 dst_sel:DWORD dst_unused:UNUSED_PAD src0_sel:WORD_1 src1_sel:DWORD
	v_fma_f16 v2, v48, v0, v2
	v_cvt_f32_f16_e32 v2, v2
	s_movk_i32 s4, 0x1ff
	v_mad_u64_u32 v[5:6], s[0:1], s11, v17, v[5:6]
	v_cvt_f64_f32_e32 v[2:3], v2
	s_movk_i32 s5, 0xffe
	v_mul_f16_sdwa v0, v48, v0 dst_sel:DWORD dst_unused:UNUSED_PAD src0_sel:WORD_1 src1_sel:DWORD
	v_fma_f16 v0, v48, v7, -v0
	v_mul_f64 v[2:3], v[2:3], s[2:3]
	v_cvt_f32_f16_e32 v7, v0
	v_mov_b32_e32 v0, 0x7c00
	s_movk_i32 s10, 0x40f
	s_mov_b32 s11, 0x8000
	v_lshrrev_b32_e32 v11, 16, v1
	v_and_or_b32 v2, v3, s4, v2
	v_cmp_ne_u32_e32 vcc, 0, v2
	v_lshrrev_b32_e32 v6, 8, v3
	v_bfe_u32 v8, v3, 20, 11
	v_cndmask_b32_e64 v2, 0, 1, vcc
	v_sub_u32_e32 v9, 0x3f1, v8
	v_and_or_b32 v2, v6, s5, v2
	v_or_b32_e32 v6, 0x1000, v2
	v_med3_i32 v9, v9, 0, 13
	v_lshrrev_b32_e32 v10, v9, v6
	v_lshlrev_b32_e32 v9, v9, v10
	v_cmp_ne_u32_e32 vcc, v9, v6
	v_cndmask_b32_e64 v6, 0, 1, vcc
	v_add_u32_e32 v8, 0xfffffc10, v8
	v_or_b32_e32 v6, v10, v6
	v_lshl_or_b32 v9, v8, 12, v2
	v_cmp_gt_i32_e32 vcc, 1, v8
	v_cndmask_b32_e32 v6, v9, v6, vcc
	v_and_b32_e32 v9, 7, v6
	v_cmp_lt_i32_e32 vcc, 5, v9
	v_cmp_eq_u32_e64 s[0:1], 3, v9
	v_lshrrev_b32_e32 v6, 2, v6
	s_or_b64 vcc, s[0:1], vcc
	v_addc_co_u32_e32 v9, vcc, 0, v6, vcc
	v_cvt_f64_f32_e32 v[6:7], v7
	v_cmp_gt_i32_e32 vcc, 31, v8
	v_cndmask_b32_e32 v9, v0, v9, vcc
	v_cmp_ne_u32_e32 vcc, 0, v2
	v_mul_f64 v[6:7], v[6:7], s[2:3]
	v_cndmask_b32_e64 v2, 0, 1, vcc
	v_lshl_or_b32 v2, v2, 9, v0
	v_cmp_eq_u32_e32 vcc, s10, v8
	v_cndmask_b32_e32 v2, v9, v2, vcc
	v_lshrrev_b32_e32 v3, 16, v3
	v_and_or_b32 v8, v3, s11, v2
	v_and_b32_e32 v8, 0xffff, v8
	v_and_or_b32 v2, v7, s4, v6
	v_cmp_ne_u32_e32 vcc, 0, v2
	v_cndmask_b32_e64 v2, 0, 1, vcc
	v_lshrrev_b32_e32 v3, 8, v7
	v_bfe_u32 v6, v7, 20, 11
	v_and_or_b32 v2, v3, s5, v2
	v_sub_u32_e32 v9, 0x3f1, v6
	v_or_b32_e32 v3, 0x1000, v2
	v_med3_i32 v9, v9, 0, 13
	v_lshrrev_b32_e32 v10, v9, v3
	v_lshlrev_b32_e32 v9, v9, v10
	v_cmp_ne_u32_e32 vcc, v9, v3
	v_cndmask_b32_e64 v3, 0, 1, vcc
	v_add_u32_e32 v6, 0xfffffc10, v6
	v_or_b32_e32 v3, v10, v3
	v_lshl_or_b32 v9, v6, 12, v2
	v_cmp_gt_i32_e32 vcc, 1, v6
	v_cndmask_b32_e32 v3, v9, v3, vcc
	v_and_b32_e32 v9, 7, v3
	v_cmp_lt_i32_e32 vcc, 5, v9
	v_cmp_eq_u32_e64 s[0:1], 3, v9
	v_lshrrev_b32_e32 v3, 2, v3
	s_or_b64 vcc, s[0:1], vcc
	v_addc_co_u32_e32 v3, vcc, 0, v3, vcc
	v_cmp_gt_i32_e32 vcc, 31, v6
	v_cndmask_b32_e32 v9, v0, v3, vcc
	v_cmp_ne_u32_e32 vcc, 0, v2
	v_cndmask_b32_e64 v2, 0, 1, vcc
	v_lshl_or_b32 v10, v2, 9, v0
	v_mad_u64_u32 v[2:3], s[0:1], s8, v46, 0
	v_cmp_eq_u32_e32 vcc, s10, v6
	v_cndmask_b32_e32 v9, v9, v10, vcc
	v_lshrrev_b32_e32 v10, 16, v7
	v_mad_u64_u32 v[6:7], s[0:1], s9, v46, v[3:4]
	v_mul_f16_sdwa v3, v47, v11 dst_sel:DWORD dst_unused:UNUSED_PAD src0_sel:WORD_1 src1_sel:DWORD
	v_fma_f16 v3, v47, v1, v3
	v_cvt_f32_f16_e32 v7, v3
	v_mov_b32_e32 v3, v6
	v_lshlrev_b64 v[4:5], 2, v[4:5]
	v_and_or_b32 v9, v10, s11, v9
	v_cvt_f64_f32_e32 v[6:7], v7
	v_lshl_or_b32 v8, v9, 16, v8
	v_mov_b32_e32 v9, s7
	v_add_co_u32_e32 v4, vcc, s6, v4
	v_mul_f64 v[6:7], v[6:7], s[2:3]
	v_lshlrev_b64 v[2:3], 2, v[2:3]
	v_addc_co_u32_e32 v5, vcc, v9, v5, vcc
	v_add_co_u32_e32 v2, vcc, v4, v2
	v_addc_co_u32_e32 v3, vcc, v5, v3, vcc
	v_and_or_b32 v4, v7, s4, v6
	v_cmp_ne_u32_e32 vcc, 0, v4
	v_cndmask_b32_e64 v4, 0, 1, vcc
	v_lshrrev_b32_e32 v5, 8, v7
	v_and_or_b32 v6, v5, s5, v4
	v_bfe_u32 v5, v7, 20, 11
	global_store_dword v[2:3], v8, off
	v_sub_u32_e32 v8, 0x3f1, v5
	v_or_b32_e32 v4, 0x1000, v6
	v_med3_i32 v8, v8, 0, 13
	v_lshrrev_b32_e32 v9, v8, v4
	v_lshlrev_b32_e32 v8, v8, v9
	v_mul_f16_sdwa v1, v47, v1 dst_sel:DWORD dst_unused:UNUSED_PAD src0_sel:WORD_1 src1_sel:DWORD
	v_cmp_ne_u32_e32 vcc, v8, v4
	v_fma_f16 v1, v47, v11, -v1
	v_cndmask_b32_e64 v4, 0, 1, vcc
	v_add_u32_e32 v8, 0xfffffc10, v5
	v_cvt_f32_f16_e32 v1, v1
	v_or_b32_e32 v4, v9, v4
	v_lshl_or_b32 v5, v8, 12, v6
	v_cmp_gt_i32_e32 vcc, 1, v8
	v_cndmask_b32_e32 v4, v5, v4, vcc
	v_and_b32_e32 v5, 7, v4
	v_cmp_lt_i32_e32 vcc, 5, v5
	v_cmp_eq_u32_e64 s[0:1], 3, v5
	v_lshrrev_b32_e32 v9, 2, v4
	v_cvt_f64_f32_e32 v[4:5], v1
	s_or_b64 vcc, s[0:1], vcc
	v_addc_co_u32_e32 v1, vcc, 0, v9, vcc
	v_mul_f64 v[4:5], v[4:5], s[2:3]
	v_cmp_gt_i32_e32 vcc, 31, v8
	v_cndmask_b32_e32 v1, v0, v1, vcc
	v_cmp_ne_u32_e32 vcc, 0, v6
	v_cndmask_b32_e64 v6, 0, 1, vcc
	v_lshl_or_b32 v6, v6, 9, v0
	v_cmp_eq_u32_e32 vcc, s10, v8
	v_cndmask_b32_e32 v1, v1, v6, vcc
	v_and_or_b32 v4, v5, s4, v4
	v_lshrrev_b32_e32 v6, 16, v7
	v_cmp_ne_u32_e32 vcc, 0, v4
	v_and_or_b32 v1, v6, s11, v1
	v_cndmask_b32_e64 v4, 0, 1, vcc
	v_lshrrev_b32_e32 v6, 8, v5
	v_bfe_u32 v7, v5, 20, 11
	v_and_or_b32 v4, v6, s5, v4
	v_sub_u32_e32 v8, 0x3f1, v7
	v_or_b32_e32 v6, 0x1000, v4
	v_med3_i32 v8, v8, 0, 13
	v_lshrrev_b32_e32 v9, v8, v6
	v_lshlrev_b32_e32 v8, v8, v9
	v_cmp_ne_u32_e32 vcc, v8, v6
	v_cndmask_b32_e64 v6, 0, 1, vcc
	v_add_u32_e32 v8, 0xfffffc10, v7
	v_or_b32_e32 v6, v9, v6
	v_lshl_or_b32 v7, v8, 12, v4
	v_cmp_gt_i32_e32 vcc, 1, v8
	v_cndmask_b32_e32 v6, v7, v6, vcc
	v_and_b32_e32 v7, 7, v6
	v_cmp_lt_i32_e32 vcc, 5, v7
	v_cmp_eq_u32_e64 s[0:1], 3, v7
	v_lshrrev_b32_e32 v6, 2, v6
	s_or_b64 vcc, s[0:1], vcc
	v_addc_co_u32_e32 v6, vcc, 0, v6, vcc
	v_cmp_gt_i32_e32 vcc, 31, v8
	v_cndmask_b32_e32 v9, v0, v6, vcc
	v_add_u32_e32 v6, 0x400, v36
	ds_read2_b32 v[6:7], v6 offset0:8 offset1:140
	v_cmp_ne_u32_e32 vcc, 0, v4
	v_cndmask_b32_e64 v4, 0, 1, vcc
	v_lshl_or_b32 v4, v4, 9, v0
	v_cmp_eq_u32_e32 vcc, s10, v8
	s_waitcnt lgkmcnt(0)
	v_lshrrev_b32_e32 v8, 16, v6
	v_cndmask_b32_e32 v4, v9, v4, vcc
	v_mul_f16_sdwa v9, v45, v8 dst_sel:DWORD dst_unused:UNUSED_PAD src0_sel:WORD_1 src1_sel:DWORD
	v_fma_f16 v9, v45, v6, v9
	v_cvt_f32_f16_e32 v9, v9
	v_lshrrev_b32_e32 v5, 16, v5
	v_and_or_b32 v4, v5, s11, v4
	v_and_b32_e32 v1, 0xffff, v1
	v_lshl_or_b32 v10, v4, 16, v1
	v_cvt_f64_f32_e32 v[4:5], v9
	s_mul_i32 s0, s9, 0x210
	s_mul_hi_u32 s6, s8, 0x210
	s_add_i32 s6, s6, s0
	v_mul_f64 v[4:5], v[4:5], s[2:3]
	s_mul_i32 s7, s8, 0x210
	v_mov_b32_e32 v9, s6
	v_add_co_u32_e32 v1, vcc, s7, v2
	v_addc_co_u32_e32 v2, vcc, v3, v9, vcc
	global_store_dword v[1:2], v10, off
	v_and_or_b32 v3, v5, s4, v4
	v_cmp_ne_u32_e32 vcc, 0, v3
	v_cndmask_b32_e64 v3, 0, 1, vcc
	v_lshrrev_b32_e32 v4, 8, v5
	v_and_or_b32 v9, v4, s5, v3
	v_bfe_u32 v4, v5, 20, 11
	v_sub_u32_e32 v10, 0x3f1, v4
	v_or_b32_e32 v3, 0x1000, v9
	v_med3_i32 v10, v10, 0, 13
	v_lshrrev_b32_e32 v11, v10, v3
	v_lshlrev_b32_e32 v10, v10, v11
	v_mul_f16_sdwa v6, v45, v6 dst_sel:DWORD dst_unused:UNUSED_PAD src0_sel:WORD_1 src1_sel:DWORD
	v_cmp_ne_u32_e32 vcc, v10, v3
	v_fma_f16 v6, v45, v8, -v6
	v_cndmask_b32_e64 v3, 0, 1, vcc
	v_add_u32_e32 v10, 0xfffffc10, v4
	v_cvt_f32_f16_e32 v6, v6
	v_or_b32_e32 v3, v11, v3
	v_lshl_or_b32 v4, v10, 12, v9
	v_cmp_gt_i32_e32 vcc, 1, v10
	v_cndmask_b32_e32 v3, v4, v3, vcc
	v_and_b32_e32 v4, 7, v3
	v_cmp_lt_i32_e32 vcc, 5, v4
	v_cmp_eq_u32_e64 s[0:1], 3, v4
	v_lshrrev_b32_e32 v8, 2, v3
	v_cvt_f64_f32_e32 v[3:4], v6
	s_or_b64 vcc, s[0:1], vcc
	v_addc_co_u32_e32 v6, vcc, 0, v8, vcc
	v_mul_f64 v[3:4], v[3:4], s[2:3]
	v_cmp_gt_i32_e32 vcc, 31, v10
	v_cndmask_b32_e32 v6, v0, v6, vcc
	v_cmp_ne_u32_e32 vcc, 0, v9
	v_cndmask_b32_e64 v8, 0, 1, vcc
	v_lshl_or_b32 v8, v8, 9, v0
	v_cmp_eq_u32_e32 vcc, s10, v10
	v_cndmask_b32_e32 v6, v6, v8, vcc
	v_and_or_b32 v3, v4, s4, v3
	v_lshrrev_b32_e32 v5, 16, v5
	v_cmp_ne_u32_e32 vcc, 0, v3
	v_and_or_b32 v8, v5, s11, v6
	v_cndmask_b32_e64 v3, 0, 1, vcc
	v_lshrrev_b32_e32 v5, 8, v4
	v_bfe_u32 v6, v4, 20, 11
	v_and_or_b32 v3, v5, s5, v3
	v_sub_u32_e32 v9, 0x3f1, v6
	v_or_b32_e32 v5, 0x1000, v3
	v_med3_i32 v9, v9, 0, 13
	v_lshrrev_b32_e32 v10, v9, v5
	v_lshlrev_b32_e32 v9, v9, v10
	v_cmp_ne_u32_e32 vcc, v9, v5
	v_cndmask_b32_e64 v5, 0, 1, vcc
	v_add_u32_e32 v6, 0xfffffc10, v6
	v_or_b32_e32 v5, v10, v5
	v_lshl_or_b32 v9, v6, 12, v3
	v_cmp_gt_i32_e32 vcc, 1, v6
	v_cndmask_b32_e32 v5, v9, v5, vcc
	v_and_b32_e32 v9, 7, v5
	v_cmp_lt_i32_e32 vcc, 5, v9
	v_cmp_eq_u32_e64 s[0:1], 3, v9
	v_lshrrev_b32_e32 v9, 16, v7
	v_lshrrev_b32_e32 v5, 2, v5
	s_or_b64 vcc, s[0:1], vcc
	v_mul_f16_sdwa v10, v44, v9 dst_sel:DWORD dst_unused:UNUSED_PAD src0_sel:WORD_1 src1_sel:DWORD
	v_addc_co_u32_e32 v5, vcc, 0, v5, vcc
	v_fma_f16 v10, v44, v7, v10
	v_cmp_gt_i32_e32 vcc, 31, v6
	v_cvt_f32_f16_e32 v10, v10
	v_cndmask_b32_e32 v5, v0, v5, vcc
	v_cmp_ne_u32_e32 vcc, 0, v3
	v_cndmask_b32_e64 v3, 0, 1, vcc
	v_lshl_or_b32 v3, v3, 9, v0
	v_cmp_eq_u32_e32 vcc, s10, v6
	v_cndmask_b32_e32 v3, v5, v3, vcc
	v_cvt_f64_f32_e32 v[5:6], v10
	v_lshrrev_b32_e32 v4, 16, v4
	v_and_or_b32 v10, v4, s11, v3
	v_add_co_u32_e32 v1, vcc, s7, v1
	v_mul_f64 v[3:4], v[5:6], s[2:3]
	v_mov_b32_e32 v6, s6
	v_and_b32_e32 v8, 0xffff, v8
	v_addc_co_u32_e32 v2, vcc, v2, v6, vcc
	v_lshl_or_b32 v5, v10, 16, v8
	global_store_dword v[1:2], v5, off
	v_mul_f16_sdwa v7, v44, v7 dst_sel:DWORD dst_unused:UNUSED_PAD src0_sel:WORD_1 src1_sel:DWORD
	v_and_or_b32 v3, v4, s4, v3
	v_cmp_ne_u32_e32 vcc, 0, v3
	v_cndmask_b32_e64 v3, 0, 1, vcc
	v_lshrrev_b32_e32 v5, 8, v4
	v_bfe_u32 v6, v4, 20, 11
	v_and_or_b32 v3, v5, s5, v3
	v_sub_u32_e32 v8, 0x3f1, v6
	v_or_b32_e32 v5, 0x1000, v3
	v_med3_i32 v8, v8, 0, 13
	v_lshrrev_b32_e32 v10, v8, v5
	v_lshlrev_b32_e32 v8, v8, v10
	v_cmp_ne_u32_e32 vcc, v8, v5
	v_fma_f16 v7, v44, v9, -v7
	v_cndmask_b32_e64 v5, 0, 1, vcc
	v_add_u32_e32 v8, 0xfffffc10, v6
	v_cvt_f32_f16_e32 v7, v7
	v_or_b32_e32 v5, v10, v5
	v_lshl_or_b32 v6, v8, 12, v3
	v_cmp_gt_i32_e32 vcc, 1, v8
	v_cndmask_b32_e32 v5, v6, v5, vcc
	v_and_b32_e32 v6, 7, v5
	v_cmp_lt_i32_e32 vcc, 5, v6
	v_cmp_eq_u32_e64 s[0:1], 3, v6
	v_lshrrev_b32_e32 v9, 2, v5
	v_cvt_f64_f32_e32 v[5:6], v7
	s_or_b64 vcc, s[0:1], vcc
	v_addc_co_u32_e32 v7, vcc, 0, v9, vcc
	v_mul_f64 v[5:6], v[5:6], s[2:3]
	v_cmp_gt_i32_e32 vcc, 31, v8
	v_cndmask_b32_e32 v7, v0, v7, vcc
	v_cmp_ne_u32_e32 vcc, 0, v3
	v_cndmask_b32_e64 v3, 0, 1, vcc
	v_lshl_or_b32 v3, v3, 9, v0
	v_cmp_eq_u32_e32 vcc, s10, v8
	v_cndmask_b32_e32 v3, v7, v3, vcc
	v_lshrrev_b32_e32 v4, 16, v4
	v_and_or_b32 v9, v4, s11, v3
	v_and_or_b32 v3, v6, s4, v5
	v_cmp_ne_u32_e32 vcc, 0, v3
	v_cndmask_b32_e64 v3, 0, 1, vcc
	v_lshrrev_b32_e32 v4, 8, v6
	v_and_or_b32 v5, v4, s5, v3
	v_bfe_u32 v4, v6, 20, 11
	v_sub_u32_e32 v7, 0x3f1, v4
	v_or_b32_e32 v3, 0x1000, v5
	v_med3_i32 v7, v7, 0, 13
	v_lshrrev_b32_e32 v8, v7, v3
	v_lshlrev_b32_e32 v7, v7, v8
	v_cmp_ne_u32_e32 vcc, v7, v3
	v_cndmask_b32_e64 v3, 0, 1, vcc
	v_add_u32_e32 v7, 0xfffffc10, v4
	v_or_b32_e32 v3, v8, v3
	v_lshl_or_b32 v4, v7, 12, v5
	v_cmp_gt_i32_e32 vcc, 1, v7
	v_cndmask_b32_e32 v3, v4, v3, vcc
	v_and_b32_e32 v4, 7, v3
	v_cmp_lt_i32_e32 vcc, 5, v4
	v_cmp_eq_u32_e64 s[0:1], 3, v4
	v_lshrrev_b32_e32 v3, 2, v3
	s_or_b64 vcc, s[0:1], vcc
	v_addc_co_u32_e32 v8, vcc, 0, v3, vcc
	v_add_u32_e32 v3, 0x800, v36
	ds_read2_b32 v[3:4], v3 offset0:16 offset1:148
	v_cmp_gt_i32_e32 vcc, 31, v7
	v_cndmask_b32_e32 v8, v0, v8, vcc
	v_cmp_ne_u32_e32 vcc, 0, v5
	v_cndmask_b32_e64 v5, 0, 1, vcc
	s_waitcnt lgkmcnt(0)
	v_lshrrev_b32_e32 v10, 16, v3
	v_mul_f16_sdwa v11, v43, v10 dst_sel:DWORD dst_unused:UNUSED_PAD src0_sel:WORD_1 src1_sel:DWORD
	v_fma_f16 v11, v43, v3, v11
	v_cvt_f32_f16_e32 v11, v11
	v_lshl_or_b32 v5, v5, 9, v0
	v_cmp_eq_u32_e32 vcc, s10, v7
	v_cndmask_b32_e32 v5, v8, v5, vcc
	v_cvt_f64_f32_e32 v[7:8], v11
	v_lshrrev_b32_e32 v6, 16, v6
	v_and_or_b32 v11, v6, s11, v5
	v_add_co_u32_e32 v1, vcc, s7, v1
	v_mul_f64 v[5:6], v[7:8], s[2:3]
	v_mov_b32_e32 v8, s6
	v_and_b32_e32 v9, 0xffff, v9
	v_addc_co_u32_e32 v2, vcc, v2, v8, vcc
	v_lshl_or_b32 v7, v11, 16, v9
	global_store_dword v[1:2], v7, off
	v_mul_f16_sdwa v3, v43, v3 dst_sel:DWORD dst_unused:UNUSED_PAD src0_sel:WORD_1 src1_sel:DWORD
	v_and_or_b32 v5, v6, s4, v5
	v_cmp_ne_u32_e32 vcc, 0, v5
	v_cndmask_b32_e64 v5, 0, 1, vcc
	v_lshrrev_b32_e32 v7, 8, v6
	v_bfe_u32 v8, v6, 20, 11
	v_and_or_b32 v5, v7, s5, v5
	v_sub_u32_e32 v9, 0x3f1, v8
	v_or_b32_e32 v7, 0x1000, v5
	v_med3_i32 v9, v9, 0, 13
	v_lshrrev_b32_e32 v11, v9, v7
	v_lshlrev_b32_e32 v9, v9, v11
	v_cmp_ne_u32_e32 vcc, v9, v7
	v_fma_f16 v3, v43, v10, -v3
	v_cndmask_b32_e64 v7, 0, 1, vcc
	v_add_u32_e32 v9, 0xfffffc10, v8
	v_cvt_f32_f16_e32 v3, v3
	v_or_b32_e32 v7, v11, v7
	v_lshl_or_b32 v8, v9, 12, v5
	v_cmp_gt_i32_e32 vcc, 1, v9
	v_cndmask_b32_e32 v7, v8, v7, vcc
	v_and_b32_e32 v8, 7, v7
	v_cmp_lt_i32_e32 vcc, 5, v8
	v_cmp_eq_u32_e64 s[0:1], 3, v8
	v_lshrrev_b32_e32 v10, 2, v7
	v_cvt_f64_f32_e32 v[7:8], v3
	s_or_b64 vcc, s[0:1], vcc
	v_addc_co_u32_e32 v3, vcc, 0, v10, vcc
	v_mul_f64 v[7:8], v[7:8], s[2:3]
	v_cmp_gt_i32_e32 vcc, 31, v9
	v_cndmask_b32_e32 v3, v0, v3, vcc
	v_cmp_ne_u32_e32 vcc, 0, v5
	v_cndmask_b32_e64 v5, 0, 1, vcc
	v_lshl_or_b32 v5, v5, 9, v0
	v_cmp_eq_u32_e32 vcc, s10, v9
	v_cndmask_b32_e32 v3, v3, v5, vcc
	v_lshrrev_b32_e32 v5, 16, v6
	v_and_or_b32 v3, v5, s11, v3
	v_and_or_b32 v5, v8, s4, v7
	v_cmp_ne_u32_e32 vcc, 0, v5
	v_cndmask_b32_e64 v5, 0, 1, vcc
	v_lshrrev_b32_e32 v6, 8, v8
	v_bfe_u32 v7, v8, 20, 11
	v_and_or_b32 v5, v6, s5, v5
	v_sub_u32_e32 v9, 0x3f1, v7
	v_or_b32_e32 v6, 0x1000, v5
	v_med3_i32 v9, v9, 0, 13
	v_lshrrev_b32_e32 v10, v9, v6
	v_lshlrev_b32_e32 v9, v9, v10
	v_cmp_ne_u32_e32 vcc, v9, v6
	v_cndmask_b32_e64 v6, 0, 1, vcc
	v_add_u32_e32 v7, 0xfffffc10, v7
	v_or_b32_e32 v6, v10, v6
	v_lshl_or_b32 v9, v7, 12, v5
	v_cmp_gt_i32_e32 vcc, 1, v7
	v_cndmask_b32_e32 v6, v9, v6, vcc
	v_and_b32_e32 v9, 7, v6
	v_cmp_lt_i32_e32 vcc, 5, v9
	v_cmp_eq_u32_e64 s[0:1], 3, v9
	v_lshrrev_b32_e32 v9, 16, v4
	v_lshrrev_b32_e32 v6, 2, v6
	s_or_b64 vcc, s[0:1], vcc
	v_mul_f16_sdwa v10, v42, v9 dst_sel:DWORD dst_unused:UNUSED_PAD src0_sel:WORD_1 src1_sel:DWORD
	v_addc_co_u32_e32 v6, vcc, 0, v6, vcc
	v_fma_f16 v10, v42, v4, v10
	v_cmp_gt_i32_e32 vcc, 31, v7
	v_cvt_f32_f16_e32 v10, v10
	v_cndmask_b32_e32 v6, v0, v6, vcc
	v_cmp_ne_u32_e32 vcc, 0, v5
	v_cndmask_b32_e64 v5, 0, 1, vcc
	v_lshl_or_b32 v5, v5, 9, v0
	v_cmp_eq_u32_e32 vcc, s10, v7
	v_cndmask_b32_e32 v7, v6, v5, vcc
	v_cvt_f64_f32_e32 v[5:6], v10
	v_lshrrev_b32_e32 v8, 16, v8
	v_and_or_b32 v7, v8, s11, v7
	v_and_b32_e32 v3, 0xffff, v3
	v_mul_f64 v[5:6], v[5:6], s[2:3]
	v_lshl_or_b32 v3, v7, 16, v3
	v_mov_b32_e32 v7, s6
	v_add_co_u32_e32 v1, vcc, s7, v1
	v_addc_co_u32_e32 v2, vcc, v2, v7, vcc
	global_store_dword v[1:2], v3, off
	v_and_or_b32 v3, v6, s4, v5
	v_cmp_ne_u32_e32 vcc, 0, v3
	v_cndmask_b32_e64 v3, 0, 1, vcc
	v_lshrrev_b32_e32 v5, 8, v6
	v_bfe_u32 v7, v6, 20, 11
	v_and_or_b32 v5, v5, s5, v3
	v_sub_u32_e32 v8, 0x3f1, v7
	v_or_b32_e32 v3, 0x1000, v5
	v_med3_i32 v8, v8, 0, 13
	v_lshrrev_b32_e32 v10, v8, v3
	v_lshlrev_b32_e32 v8, v8, v10
	v_mul_f16_sdwa v4, v42, v4 dst_sel:DWORD dst_unused:UNUSED_PAD src0_sel:WORD_1 src1_sel:DWORD
	v_cmp_ne_u32_e32 vcc, v8, v3
	v_fma_f16 v4, v42, v9, -v4
	v_cndmask_b32_e64 v3, 0, 1, vcc
	v_add_u32_e32 v7, 0xfffffc10, v7
	v_cvt_f32_f16_e32 v4, v4
	v_or_b32_e32 v3, v10, v3
	v_lshl_or_b32 v8, v7, 12, v5
	v_cmp_gt_i32_e32 vcc, 1, v7
	v_cndmask_b32_e32 v3, v8, v3, vcc
	v_and_b32_e32 v8, 7, v3
	v_cmp_lt_i32_e32 vcc, 5, v8
	v_cmp_eq_u32_e64 s[0:1], 3, v8
	v_lshrrev_b32_e32 v8, 2, v3
	v_cvt_f64_f32_e32 v[3:4], v4
	s_or_b64 vcc, s[0:1], vcc
	v_addc_co_u32_e32 v8, vcc, 0, v8, vcc
	v_mul_f64 v[3:4], v[3:4], s[2:3]
	v_cmp_gt_i32_e32 vcc, 31, v7
	v_cndmask_b32_e32 v8, v0, v8, vcc
	v_cmp_ne_u32_e32 vcc, 0, v5
	v_cndmask_b32_e64 v5, 0, 1, vcc
	v_lshl_or_b32 v5, v5, 9, v0
	v_cmp_eq_u32_e32 vcc, s10, v7
	v_cndmask_b32_e32 v5, v8, v5, vcc
	v_and_or_b32 v3, v4, s4, v3
	v_lshrrev_b32_e32 v6, 16, v6
	v_cmp_ne_u32_e32 vcc, 0, v3
	v_and_or_b32 v9, v6, s11, v5
	v_cndmask_b32_e64 v3, 0, 1, vcc
	v_lshrrev_b32_e32 v5, 8, v4
	v_bfe_u32 v6, v4, 20, 11
	v_and_or_b32 v3, v5, s5, v3
	v_sub_u32_e32 v7, 0x3f1, v6
	v_or_b32_e32 v5, 0x1000, v3
	v_med3_i32 v7, v7, 0, 13
	v_lshrrev_b32_e32 v8, v7, v5
	v_lshlrev_b32_e32 v7, v7, v8
	v_cmp_ne_u32_e32 vcc, v7, v5
	v_cndmask_b32_e64 v5, 0, 1, vcc
	v_add_u32_e32 v7, 0xfffffc10, v6
	v_or_b32_e32 v5, v8, v5
	v_lshl_or_b32 v6, v7, 12, v3
	v_cmp_gt_i32_e32 vcc, 1, v7
	v_cndmask_b32_e32 v5, v6, v5, vcc
	v_and_b32_e32 v6, 7, v5
	v_cmp_lt_i32_e32 vcc, 5, v6
	v_cmp_eq_u32_e64 s[0:1], 3, v6
	v_lshrrev_b32_e32 v5, 2, v5
	s_or_b64 vcc, s[0:1], vcc
	v_addc_co_u32_e32 v8, vcc, 0, v5, vcc
	v_add_u32_e32 v5, 0xc00, v36
	ds_read2_b32 v[5:6], v5 offset0:24 offset1:156
	v_cmp_gt_i32_e32 vcc, 31, v7
	v_cndmask_b32_e32 v8, v0, v8, vcc
	v_cmp_ne_u32_e32 vcc, 0, v3
	v_cndmask_b32_e64 v3, 0, 1, vcc
	s_waitcnt lgkmcnt(0)
	v_lshrrev_b32_e32 v10, 16, v5
	v_mul_f16_sdwa v11, v41, v10 dst_sel:DWORD dst_unused:UNUSED_PAD src0_sel:WORD_1 src1_sel:DWORD
	v_fma_f16 v11, v41, v5, v11
	v_cvt_f32_f16_e32 v11, v11
	v_lshl_or_b32 v3, v3, 9, v0
	v_cmp_eq_u32_e32 vcc, s10, v7
	v_cndmask_b32_e32 v3, v8, v3, vcc
	v_cvt_f64_f32_e32 v[7:8], v11
	v_lshrrev_b32_e32 v4, 16, v4
	v_and_or_b32 v11, v4, s11, v3
	v_add_co_u32_e32 v1, vcc, s7, v1
	v_mul_f64 v[3:4], v[7:8], s[2:3]
	v_mov_b32_e32 v8, s6
	v_and_b32_e32 v9, 0xffff, v9
	v_addc_co_u32_e32 v2, vcc, v2, v8, vcc
	v_lshl_or_b32 v7, v11, 16, v9
	global_store_dword v[1:2], v7, off
	v_mul_f16_sdwa v5, v41, v5 dst_sel:DWORD dst_unused:UNUSED_PAD src0_sel:WORD_1 src1_sel:DWORD
	v_and_or_b32 v3, v4, s4, v3
	v_cmp_ne_u32_e32 vcc, 0, v3
	v_cndmask_b32_e64 v3, 0, 1, vcc
	v_lshrrev_b32_e32 v7, 8, v4
	v_bfe_u32 v8, v4, 20, 11
	v_and_or_b32 v3, v7, s5, v3
	v_sub_u32_e32 v9, 0x3f1, v8
	v_or_b32_e32 v7, 0x1000, v3
	v_med3_i32 v9, v9, 0, 13
	v_lshrrev_b32_e32 v11, v9, v7
	v_lshlrev_b32_e32 v9, v9, v11
	v_cmp_ne_u32_e32 vcc, v9, v7
	v_fma_f16 v5, v41, v10, -v5
	v_cndmask_b32_e64 v7, 0, 1, vcc
	v_add_u32_e32 v9, 0xfffffc10, v8
	v_cvt_f32_f16_e32 v5, v5
	v_or_b32_e32 v7, v11, v7
	v_lshl_or_b32 v8, v9, 12, v3
	v_cmp_gt_i32_e32 vcc, 1, v9
	v_cndmask_b32_e32 v7, v8, v7, vcc
	v_and_b32_e32 v8, 7, v7
	v_cmp_lt_i32_e32 vcc, 5, v8
	v_cmp_eq_u32_e64 s[0:1], 3, v8
	v_lshrrev_b32_e32 v10, 2, v7
	v_cvt_f64_f32_e32 v[7:8], v5
	s_or_b64 vcc, s[0:1], vcc
	v_addc_co_u32_e32 v5, vcc, 0, v10, vcc
	v_mul_f64 v[7:8], v[7:8], s[2:3]
	v_cmp_gt_i32_e32 vcc, 31, v9
	v_cndmask_b32_e32 v5, v0, v5, vcc
	v_cmp_ne_u32_e32 vcc, 0, v3
	v_cndmask_b32_e64 v3, 0, 1, vcc
	v_lshl_or_b32 v3, v3, 9, v0
	v_cmp_eq_u32_e32 vcc, s10, v9
	v_cndmask_b32_e32 v3, v5, v3, vcc
	v_lshrrev_b32_e32 v4, 16, v4
	v_and_or_b32 v5, v4, s11, v3
	v_and_or_b32 v3, v8, s4, v7
	v_cmp_ne_u32_e32 vcc, 0, v3
	v_cndmask_b32_e64 v3, 0, 1, vcc
	v_lshrrev_b32_e32 v4, 8, v8
	v_bfe_u32 v7, v8, 20, 11
	v_and_or_b32 v3, v4, s5, v3
	v_sub_u32_e32 v9, 0x3f1, v7
	v_or_b32_e32 v4, 0x1000, v3
	v_med3_i32 v9, v9, 0, 13
	v_lshrrev_b32_e32 v10, v9, v4
	v_lshlrev_b32_e32 v9, v9, v10
	v_cmp_ne_u32_e32 vcc, v9, v4
	v_cndmask_b32_e64 v4, 0, 1, vcc
	v_add_u32_e32 v7, 0xfffffc10, v7
	v_or_b32_e32 v4, v10, v4
	v_lshl_or_b32 v9, v7, 12, v3
	v_cmp_gt_i32_e32 vcc, 1, v7
	v_cndmask_b32_e32 v4, v9, v4, vcc
	v_and_b32_e32 v9, 7, v4
	v_cmp_lt_i32_e32 vcc, 5, v9
	v_cmp_eq_u32_e64 s[0:1], 3, v9
	v_lshrrev_b32_e32 v9, 16, v6
	v_lshrrev_b32_e32 v4, 2, v4
	s_or_b64 vcc, s[0:1], vcc
	v_mul_f16_sdwa v10, v40, v9 dst_sel:DWORD dst_unused:UNUSED_PAD src0_sel:WORD_1 src1_sel:DWORD
	v_addc_co_u32_e32 v4, vcc, 0, v4, vcc
	v_fma_f16 v10, v40, v6, v10
	v_cmp_gt_i32_e32 vcc, 31, v7
	v_cvt_f32_f16_e32 v10, v10
	v_cndmask_b32_e32 v4, v0, v4, vcc
	v_cmp_ne_u32_e32 vcc, 0, v3
	v_cndmask_b32_e64 v3, 0, 1, vcc
	v_lshl_or_b32 v3, v3, 9, v0
	v_cmp_eq_u32_e32 vcc, s10, v7
	v_cndmask_b32_e32 v7, v4, v3, vcc
	v_cvt_f64_f32_e32 v[3:4], v10
	v_lshrrev_b32_e32 v8, 16, v8
	v_and_or_b32 v7, v8, s11, v7
	v_and_b32_e32 v5, 0xffff, v5
	v_mul_f64 v[3:4], v[3:4], s[2:3]
	v_lshl_or_b32 v5, v7, 16, v5
	v_mov_b32_e32 v7, s6
	v_add_co_u32_e32 v1, vcc, s7, v1
	v_addc_co_u32_e32 v2, vcc, v2, v7, vcc
	global_store_dword v[1:2], v5, off
	v_and_or_b32 v3, v4, s4, v3
	v_cmp_ne_u32_e32 vcc, 0, v3
	v_cndmask_b32_e64 v3, 0, 1, vcc
	v_lshrrev_b32_e32 v5, 8, v4
	v_bfe_u32 v7, v4, 20, 11
	v_and_or_b32 v3, v5, s5, v3
	v_sub_u32_e32 v8, 0x3f1, v7
	v_or_b32_e32 v5, 0x1000, v3
	v_med3_i32 v8, v8, 0, 13
	v_lshrrev_b32_e32 v10, v8, v5
	v_lshlrev_b32_e32 v8, v8, v10
	v_mul_f16_sdwa v6, v40, v6 dst_sel:DWORD dst_unused:UNUSED_PAD src0_sel:WORD_1 src1_sel:DWORD
	v_cmp_ne_u32_e32 vcc, v8, v5
	v_fma_f16 v6, v40, v9, -v6
	v_cndmask_b32_e64 v5, 0, 1, vcc
	v_add_u32_e32 v7, 0xfffffc10, v7
	v_cvt_f32_f16_e32 v6, v6
	v_or_b32_e32 v5, v10, v5
	v_lshl_or_b32 v8, v7, 12, v3
	v_cmp_gt_i32_e32 vcc, 1, v7
	v_cndmask_b32_e32 v5, v8, v5, vcc
	v_and_b32_e32 v8, 7, v5
	v_cmp_lt_i32_e32 vcc, 5, v8
	v_cmp_eq_u32_e64 s[0:1], 3, v8
	v_lshrrev_b32_e32 v8, 2, v5
	v_cvt_f64_f32_e32 v[5:6], v6
	s_or_b64 vcc, s[0:1], vcc
	v_addc_co_u32_e32 v8, vcc, 0, v8, vcc
	v_mul_f64 v[5:6], v[5:6], s[2:3]
	v_cmp_gt_i32_e32 vcc, 31, v7
	v_cndmask_b32_e32 v8, v0, v8, vcc
	v_cmp_ne_u32_e32 vcc, 0, v3
	v_cndmask_b32_e64 v3, 0, 1, vcc
	v_lshl_or_b32 v3, v3, 9, v0
	v_cmp_eq_u32_e32 vcc, s10, v7
	v_cndmask_b32_e32 v3, v8, v3, vcc
	v_lshrrev_b32_e32 v4, 16, v4
	v_and_or_b32 v9, v4, s11, v3
	v_and_or_b32 v3, v6, s4, v5
	v_cmp_ne_u32_e32 vcc, 0, v3
	v_cndmask_b32_e64 v3, 0, 1, vcc
	v_lshrrev_b32_e32 v4, 8, v6
	v_and_or_b32 v5, v4, s5, v3
	v_bfe_u32 v4, v6, 20, 11
	v_sub_u32_e32 v7, 0x3f1, v4
	v_or_b32_e32 v3, 0x1000, v5
	v_med3_i32 v7, v7, 0, 13
	v_lshrrev_b32_e32 v8, v7, v3
	v_lshlrev_b32_e32 v7, v7, v8
	v_cmp_ne_u32_e32 vcc, v7, v3
	v_cndmask_b32_e64 v3, 0, 1, vcc
	v_add_u32_e32 v7, 0xfffffc10, v4
	v_or_b32_e32 v3, v8, v3
	v_lshl_or_b32 v4, v7, 12, v5
	v_cmp_gt_i32_e32 vcc, 1, v7
	v_cndmask_b32_e32 v3, v4, v3, vcc
	v_and_b32_e32 v4, 7, v3
	v_cmp_lt_i32_e32 vcc, 5, v4
	v_cmp_eq_u32_e64 s[0:1], 3, v4
	v_lshrrev_b32_e32 v3, 2, v3
	s_or_b64 vcc, s[0:1], vcc
	v_addc_co_u32_e32 v8, vcc, 0, v3, vcc
	v_add_u32_e32 v3, 0x1000, v36
	ds_read2_b32 v[3:4], v3 offset0:32 offset1:164
	v_cmp_gt_i32_e32 vcc, 31, v7
	v_cndmask_b32_e32 v8, v0, v8, vcc
	v_cmp_ne_u32_e32 vcc, 0, v5
	v_cndmask_b32_e64 v5, 0, 1, vcc
	s_waitcnt lgkmcnt(0)
	v_lshrrev_b32_e32 v10, 16, v3
	v_mul_f16_sdwa v11, v39, v10 dst_sel:DWORD dst_unused:UNUSED_PAD src0_sel:WORD_1 src1_sel:DWORD
	v_fma_f16 v11, v39, v3, v11
	v_cvt_f32_f16_e32 v11, v11
	v_lshl_or_b32 v5, v5, 9, v0
	v_cmp_eq_u32_e32 vcc, s10, v7
	v_cndmask_b32_e32 v5, v8, v5, vcc
	v_cvt_f64_f32_e32 v[7:8], v11
	v_lshrrev_b32_e32 v6, 16, v6
	v_and_or_b32 v11, v6, s11, v5
	v_add_co_u32_e32 v1, vcc, s7, v1
	v_mul_f64 v[5:6], v[7:8], s[2:3]
	v_mov_b32_e32 v8, s6
	v_and_b32_e32 v9, 0xffff, v9
	v_addc_co_u32_e32 v2, vcc, v2, v8, vcc
	v_lshl_or_b32 v7, v11, 16, v9
	global_store_dword v[1:2], v7, off
	v_mul_f16_sdwa v3, v39, v3 dst_sel:DWORD dst_unused:UNUSED_PAD src0_sel:WORD_1 src1_sel:DWORD
	v_and_or_b32 v5, v6, s4, v5
	v_cmp_ne_u32_e32 vcc, 0, v5
	v_cndmask_b32_e64 v5, 0, 1, vcc
	v_lshrrev_b32_e32 v7, 8, v6
	v_bfe_u32 v8, v6, 20, 11
	v_and_or_b32 v5, v7, s5, v5
	v_sub_u32_e32 v9, 0x3f1, v8
	v_or_b32_e32 v7, 0x1000, v5
	v_med3_i32 v9, v9, 0, 13
	v_lshrrev_b32_e32 v11, v9, v7
	v_lshlrev_b32_e32 v9, v9, v11
	v_cmp_ne_u32_e32 vcc, v9, v7
	v_fma_f16 v3, v39, v10, -v3
	v_cndmask_b32_e64 v7, 0, 1, vcc
	v_add_u32_e32 v9, 0xfffffc10, v8
	v_cvt_f32_f16_e32 v3, v3
	v_or_b32_e32 v7, v11, v7
	v_lshl_or_b32 v8, v9, 12, v5
	v_cmp_gt_i32_e32 vcc, 1, v9
	v_cndmask_b32_e32 v7, v8, v7, vcc
	v_and_b32_e32 v8, 7, v7
	v_cmp_lt_i32_e32 vcc, 5, v8
	v_cmp_eq_u32_e64 s[0:1], 3, v8
	v_lshrrev_b32_e32 v10, 2, v7
	v_cvt_f64_f32_e32 v[7:8], v3
	s_or_b64 vcc, s[0:1], vcc
	v_addc_co_u32_e32 v3, vcc, 0, v10, vcc
	v_mul_f64 v[7:8], v[7:8], s[2:3]
	v_cmp_gt_i32_e32 vcc, 31, v9
	v_cndmask_b32_e32 v3, v0, v3, vcc
	v_cmp_ne_u32_e32 vcc, 0, v5
	v_cndmask_b32_e64 v5, 0, 1, vcc
	v_lshl_or_b32 v5, v5, 9, v0
	v_cmp_eq_u32_e32 vcc, s10, v9
	v_cndmask_b32_e32 v3, v3, v5, vcc
	v_lshrrev_b32_e32 v5, 16, v6
	v_and_or_b32 v3, v5, s11, v3
	v_and_or_b32 v5, v8, s4, v7
	v_cmp_ne_u32_e32 vcc, 0, v5
	v_cndmask_b32_e64 v5, 0, 1, vcc
	v_lshrrev_b32_e32 v6, 8, v8
	v_bfe_u32 v7, v8, 20, 11
	v_and_or_b32 v5, v6, s5, v5
	v_sub_u32_e32 v9, 0x3f1, v7
	v_or_b32_e32 v6, 0x1000, v5
	v_med3_i32 v9, v9, 0, 13
	v_lshrrev_b32_e32 v10, v9, v6
	v_lshlrev_b32_e32 v9, v9, v10
	v_cmp_ne_u32_e32 vcc, v9, v6
	v_cndmask_b32_e64 v6, 0, 1, vcc
	v_add_u32_e32 v7, 0xfffffc10, v7
	v_or_b32_e32 v6, v10, v6
	v_lshl_or_b32 v9, v7, 12, v5
	v_cmp_gt_i32_e32 vcc, 1, v7
	v_cndmask_b32_e32 v6, v9, v6, vcc
	v_and_b32_e32 v9, 7, v6
	v_cmp_lt_i32_e32 vcc, 5, v9
	v_cmp_eq_u32_e64 s[0:1], 3, v9
	v_lshrrev_b32_e32 v9, 16, v4
	v_lshrrev_b32_e32 v6, 2, v6
	s_or_b64 vcc, s[0:1], vcc
	v_mul_f16_sdwa v10, v38, v9 dst_sel:DWORD dst_unused:UNUSED_PAD src0_sel:WORD_1 src1_sel:DWORD
	v_addc_co_u32_e32 v6, vcc, 0, v6, vcc
	v_fma_f16 v10, v38, v4, v10
	v_cmp_gt_i32_e32 vcc, 31, v7
	v_cvt_f32_f16_e32 v10, v10
	v_cndmask_b32_e32 v6, v0, v6, vcc
	v_cmp_ne_u32_e32 vcc, 0, v5
	v_cndmask_b32_e64 v5, 0, 1, vcc
	v_lshl_or_b32 v5, v5, 9, v0
	v_cmp_eq_u32_e32 vcc, s10, v7
	v_cndmask_b32_e32 v7, v6, v5, vcc
	v_cvt_f64_f32_e32 v[5:6], v10
	v_lshrrev_b32_e32 v8, 16, v8
	v_and_or_b32 v7, v8, s11, v7
	v_and_b32_e32 v3, 0xffff, v3
	v_mul_f64 v[5:6], v[5:6], s[2:3]
	v_lshl_or_b32 v3, v7, 16, v3
	v_mov_b32_e32 v7, s6
	v_add_co_u32_e32 v1, vcc, s7, v1
	v_addc_co_u32_e32 v2, vcc, v2, v7, vcc
	global_store_dword v[1:2], v3, off
	v_and_or_b32 v3, v6, s4, v5
	v_cmp_ne_u32_e32 vcc, 0, v3
	v_cndmask_b32_e64 v3, 0, 1, vcc
	v_lshrrev_b32_e32 v5, 8, v6
	v_bfe_u32 v7, v6, 20, 11
	v_and_or_b32 v5, v5, s5, v3
	v_sub_u32_e32 v8, 0x3f1, v7
	v_or_b32_e32 v3, 0x1000, v5
	v_med3_i32 v8, v8, 0, 13
	v_lshrrev_b32_e32 v10, v8, v3
	v_lshlrev_b32_e32 v8, v8, v10
	v_mul_f16_sdwa v4, v38, v4 dst_sel:DWORD dst_unused:UNUSED_PAD src0_sel:WORD_1 src1_sel:DWORD
	v_cmp_ne_u32_e32 vcc, v8, v3
	v_fma_f16 v4, v38, v9, -v4
	v_cndmask_b32_e64 v3, 0, 1, vcc
	v_add_u32_e32 v7, 0xfffffc10, v7
	v_cvt_f32_f16_e32 v4, v4
	v_or_b32_e32 v3, v10, v3
	v_lshl_or_b32 v8, v7, 12, v5
	v_cmp_gt_i32_e32 vcc, 1, v7
	v_cndmask_b32_e32 v3, v8, v3, vcc
	v_and_b32_e32 v8, 7, v3
	v_cmp_lt_i32_e32 vcc, 5, v8
	v_cmp_eq_u32_e64 s[0:1], 3, v8
	v_lshrrev_b32_e32 v8, 2, v3
	v_cvt_f64_f32_e32 v[3:4], v4
	s_or_b64 vcc, s[0:1], vcc
	v_addc_co_u32_e32 v8, vcc, 0, v8, vcc
	v_mul_f64 v[3:4], v[3:4], s[2:3]
	v_cmp_gt_i32_e32 vcc, 31, v7
	v_cndmask_b32_e32 v8, v0, v8, vcc
	v_cmp_ne_u32_e32 vcc, 0, v5
	v_cndmask_b32_e64 v5, 0, 1, vcc
	v_lshl_or_b32 v5, v5, 9, v0
	v_cmp_eq_u32_e32 vcc, s10, v7
	v_cndmask_b32_e32 v5, v8, v5, vcc
	v_and_or_b32 v3, v4, s4, v3
	v_lshrrev_b32_e32 v6, 16, v6
	v_cmp_ne_u32_e32 vcc, 0, v3
	v_and_or_b32 v7, v6, s11, v5
	v_cndmask_b32_e64 v3, 0, 1, vcc
	v_lshrrev_b32_e32 v5, 8, v4
	v_bfe_u32 v6, v4, 20, 11
	v_and_or_b32 v3, v5, s5, v3
	v_sub_u32_e32 v8, 0x3f1, v6
	v_or_b32_e32 v5, 0x1000, v3
	v_med3_i32 v8, v8, 0, 13
	v_lshrrev_b32_e32 v9, v8, v5
	v_lshlrev_b32_e32 v8, v8, v9
	v_cmp_ne_u32_e32 vcc, v8, v5
	v_cndmask_b32_e64 v5, 0, 1, vcc
	v_add_u32_e32 v6, 0xfffffc10, v6
	v_or_b32_e32 v5, v9, v5
	v_lshl_or_b32 v8, v6, 12, v3
	v_cmp_gt_i32_e32 vcc, 1, v6
	v_cndmask_b32_e32 v5, v8, v5, vcc
	v_and_b32_e32 v8, 7, v5
	v_cmp_lt_i32_e32 vcc, 5, v8
	v_cmp_eq_u32_e64 s[0:1], 3, v8
	ds_read_b32 v8, v36 offset:5280
	v_lshrrev_b32_e32 v5, 2, v5
	s_or_b64 vcc, s[0:1], vcc
	v_addc_co_u32_e32 v5, vcc, 0, v5, vcc
	s_waitcnt lgkmcnt(0)
	v_lshrrev_b32_e32 v9, 16, v8
	v_mul_f16_sdwa v10, v37, v9 dst_sel:DWORD dst_unused:UNUSED_PAD src0_sel:WORD_1 src1_sel:DWORD
	v_fma_f16 v10, v37, v8, v10
	v_cmp_gt_i32_e32 vcc, 31, v6
	v_cvt_f32_f16_e32 v10, v10
	v_cndmask_b32_e32 v5, v0, v5, vcc
	v_cmp_ne_u32_e32 vcc, 0, v3
	v_cndmask_b32_e64 v3, 0, 1, vcc
	v_lshl_or_b32 v3, v3, 9, v0
	v_cmp_eq_u32_e32 vcc, s10, v6
	v_cndmask_b32_e32 v3, v5, v3, vcc
	v_cvt_f64_f32_e32 v[5:6], v10
	v_lshrrev_b32_e32 v4, 16, v4
	v_and_or_b32 v10, v4, s11, v3
	v_add_co_u32_e32 v1, vcc, s7, v1
	v_mul_f64 v[3:4], v[5:6], s[2:3]
	v_mov_b32_e32 v6, s6
	v_and_b32_e32 v7, 0xffff, v7
	v_addc_co_u32_e32 v2, vcc, v2, v6, vcc
	v_lshl_or_b32 v5, v10, 16, v7
	global_store_dword v[1:2], v5, off
	v_mul_f16_sdwa v8, v37, v8 dst_sel:DWORD dst_unused:UNUSED_PAD src0_sel:WORD_1 src1_sel:DWORD
	v_and_or_b32 v3, v4, s4, v3
	v_cmp_ne_u32_e32 vcc, 0, v3
	v_cndmask_b32_e64 v3, 0, 1, vcc
	v_lshrrev_b32_e32 v5, 8, v4
	v_bfe_u32 v6, v4, 20, 11
	v_and_or_b32 v3, v5, s5, v3
	v_sub_u32_e32 v7, 0x3f1, v6
	v_or_b32_e32 v5, 0x1000, v3
	v_med3_i32 v7, v7, 0, 13
	v_lshrrev_b32_e32 v10, v7, v5
	v_lshlrev_b32_e32 v7, v7, v10
	v_cmp_ne_u32_e32 vcc, v7, v5
	v_fma_f16 v8, v37, v9, -v8
	v_cndmask_b32_e64 v5, 0, 1, vcc
	v_add_u32_e32 v7, 0xfffffc10, v6
	v_cvt_f32_f16_e32 v8, v8
	v_or_b32_e32 v5, v10, v5
	v_lshl_or_b32 v6, v7, 12, v3
	v_cmp_gt_i32_e32 vcc, 1, v7
	v_cndmask_b32_e32 v5, v6, v5, vcc
	v_and_b32_e32 v6, 7, v5
	v_cmp_lt_i32_e32 vcc, 5, v6
	v_cmp_eq_u32_e64 s[0:1], 3, v6
	v_lshrrev_b32_e32 v9, 2, v5
	v_cvt_f64_f32_e32 v[5:6], v8
	s_or_b64 vcc, s[0:1], vcc
	v_addc_co_u32_e32 v8, vcc, 0, v9, vcc
	v_mul_f64 v[5:6], v[5:6], s[2:3]
	v_cmp_gt_i32_e32 vcc, 31, v7
	v_cndmask_b32_e32 v8, v0, v8, vcc
	v_cmp_ne_u32_e32 vcc, 0, v3
	v_cndmask_b32_e64 v3, 0, 1, vcc
	v_lshl_or_b32 v3, v3, 9, v0
	v_cmp_eq_u32_e32 vcc, s10, v7
	v_cndmask_b32_e32 v3, v8, v3, vcc
	v_lshrrev_b32_e32 v4, 16, v4
	v_and_or_b32 v3, v4, s11, v3
	v_and_or_b32 v4, v6, s4, v5
	v_cmp_ne_u32_e32 vcc, 0, v4
	v_cndmask_b32_e64 v4, 0, 1, vcc
	v_lshrrev_b32_e32 v5, 8, v6
	v_bfe_u32 v7, v6, 20, 11
	v_and_or_b32 v4, v5, s5, v4
	v_sub_u32_e32 v8, 0x3f1, v7
	v_or_b32_e32 v5, 0x1000, v4
	v_med3_i32 v8, v8, 0, 13
	v_lshrrev_b32_e32 v9, v8, v5
	v_lshlrev_b32_e32 v8, v8, v9
	v_cmp_ne_u32_e32 vcc, v8, v5
	v_cndmask_b32_e64 v5, 0, 1, vcc
	v_add_u32_e32 v7, 0xfffffc10, v7
	v_or_b32_e32 v5, v9, v5
	v_lshl_or_b32 v8, v7, 12, v4
	v_cmp_gt_i32_e32 vcc, 1, v7
	v_cndmask_b32_e32 v5, v8, v5, vcc
	v_and_b32_e32 v8, 7, v5
	v_cmp_lt_i32_e32 vcc, 5, v8
	v_cmp_eq_u32_e64 s[0:1], 3, v8
	v_lshrrev_b32_e32 v5, 2, v5
	s_or_b64 vcc, s[0:1], vcc
	v_addc_co_u32_e32 v5, vcc, 0, v5, vcc
	v_cmp_gt_i32_e32 vcc, 31, v7
	v_cndmask_b32_e32 v5, v0, v5, vcc
	v_cmp_ne_u32_e32 vcc, 0, v4
	v_cndmask_b32_e64 v4, 0, 1, vcc
	v_lshl_or_b32 v0, v4, 9, v0
	v_cmp_eq_u32_e32 vcc, s10, v7
	v_cndmask_b32_e32 v0, v5, v0, vcc
	v_lshrrev_b32_e32 v4, 16, v6
	v_and_or_b32 v0, v4, s11, v0
	v_and_b32_e32 v3, 0xffff, v3
	v_lshl_or_b32 v3, v0, 16, v3
	v_mov_b32_e32 v4, s6
	v_add_co_u32_e32 v0, vcc, s7, v1
	v_addc_co_u32_e32 v1, vcc, v2, v4, vcc
	global_store_dword v[0:1], v3, off
.LBB0_18:
	s_endpgm
	.section	.rodata,"a",@progbits
	.p2align	6, 0x0
	.amdhsa_kernel bluestein_single_back_len1452_dim1_half_op_CI_CI
		.amdhsa_group_segment_fixed_size 5808
		.amdhsa_private_segment_fixed_size 0
		.amdhsa_kernarg_size 104
		.amdhsa_user_sgpr_count 6
		.amdhsa_user_sgpr_private_segment_buffer 1
		.amdhsa_user_sgpr_dispatch_ptr 0
		.amdhsa_user_sgpr_queue_ptr 0
		.amdhsa_user_sgpr_kernarg_segment_ptr 1
		.amdhsa_user_sgpr_dispatch_id 0
		.amdhsa_user_sgpr_flat_scratch_init 0
		.amdhsa_user_sgpr_private_segment_size 0
		.amdhsa_uses_dynamic_stack 0
		.amdhsa_system_sgpr_private_segment_wavefront_offset 0
		.amdhsa_system_sgpr_workgroup_id_x 1
		.amdhsa_system_sgpr_workgroup_id_y 0
		.amdhsa_system_sgpr_workgroup_id_z 0
		.amdhsa_system_sgpr_workgroup_info 0
		.amdhsa_system_vgpr_workitem_id 0
		.amdhsa_next_free_vgpr 91
		.amdhsa_next_free_sgpr 26
		.amdhsa_reserve_vcc 1
		.amdhsa_reserve_flat_scratch 0
		.amdhsa_float_round_mode_32 0
		.amdhsa_float_round_mode_16_64 0
		.amdhsa_float_denorm_mode_32 3
		.amdhsa_float_denorm_mode_16_64 3
		.amdhsa_dx10_clamp 1
		.amdhsa_ieee_mode 1
		.amdhsa_fp16_overflow 0
		.amdhsa_exception_fp_ieee_invalid_op 0
		.amdhsa_exception_fp_denorm_src 0
		.amdhsa_exception_fp_ieee_div_zero 0
		.amdhsa_exception_fp_ieee_overflow 0
		.amdhsa_exception_fp_ieee_underflow 0
		.amdhsa_exception_fp_ieee_inexact 0
		.amdhsa_exception_int_div_zero 0
	.end_amdhsa_kernel
	.text
.Lfunc_end0:
	.size	bluestein_single_back_len1452_dim1_half_op_CI_CI, .Lfunc_end0-bluestein_single_back_len1452_dim1_half_op_CI_CI
                                        ; -- End function
	.section	.AMDGPU.csdata,"",@progbits
; Kernel info:
; codeLenInByte = 20852
; NumSgprs: 30
; NumVgprs: 91
; ScratchSize: 0
; MemoryBound: 0
; FloatMode: 240
; IeeeMode: 1
; LDSByteSize: 5808 bytes/workgroup (compile time only)
; SGPRBlocks: 3
; VGPRBlocks: 22
; NumSGPRsForWavesPerEU: 30
; NumVGPRsForWavesPerEU: 91
; Occupancy: 2
; WaveLimiterHint : 1
; COMPUTE_PGM_RSRC2:SCRATCH_EN: 0
; COMPUTE_PGM_RSRC2:USER_SGPR: 6
; COMPUTE_PGM_RSRC2:TRAP_HANDLER: 0
; COMPUTE_PGM_RSRC2:TGID_X_EN: 1
; COMPUTE_PGM_RSRC2:TGID_Y_EN: 0
; COMPUTE_PGM_RSRC2:TGID_Z_EN: 0
; COMPUTE_PGM_RSRC2:TIDIG_COMP_CNT: 0
	.type	__hip_cuid_1e287e1915287e07,@object ; @__hip_cuid_1e287e1915287e07
	.section	.bss,"aw",@nobits
	.globl	__hip_cuid_1e287e1915287e07
__hip_cuid_1e287e1915287e07:
	.byte	0                               ; 0x0
	.size	__hip_cuid_1e287e1915287e07, 1

	.ident	"AMD clang version 19.0.0git (https://github.com/RadeonOpenCompute/llvm-project roc-6.4.0 25133 c7fe45cf4b819c5991fe208aaa96edf142730f1d)"
	.section	".note.GNU-stack","",@progbits
	.addrsig
	.addrsig_sym __hip_cuid_1e287e1915287e07
	.amdgpu_metadata
---
amdhsa.kernels:
  - .args:
      - .actual_access:  read_only
        .address_space:  global
        .offset:         0
        .size:           8
        .value_kind:     global_buffer
      - .actual_access:  read_only
        .address_space:  global
        .offset:         8
        .size:           8
        .value_kind:     global_buffer
      - .actual_access:  read_only
        .address_space:  global
        .offset:         16
        .size:           8
        .value_kind:     global_buffer
      - .actual_access:  read_only
        .address_space:  global
        .offset:         24
        .size:           8
        .value_kind:     global_buffer
      - .actual_access:  read_only
        .address_space:  global
        .offset:         32
        .size:           8
        .value_kind:     global_buffer
      - .offset:         40
        .size:           8
        .value_kind:     by_value
      - .address_space:  global
        .offset:         48
        .size:           8
        .value_kind:     global_buffer
      - .address_space:  global
        .offset:         56
        .size:           8
        .value_kind:     global_buffer
      - .address_space:  global
        .offset:         64
        .size:           8
        .value_kind:     global_buffer
      - .address_space:  global
        .offset:         72
        .size:           8
        .value_kind:     global_buffer
      - .offset:         80
        .size:           4
        .value_kind:     by_value
      - .address_space:  global
        .offset:         88
        .size:           8
        .value_kind:     global_buffer
      - .address_space:  global
        .offset:         96
        .size:           8
        .value_kind:     global_buffer
    .group_segment_fixed_size: 5808
    .kernarg_segment_align: 8
    .kernarg_segment_size: 104
    .language:       OpenCL C
    .language_version:
      - 2
      - 0
    .max_flat_workgroup_size: 132
    .name:           bluestein_single_back_len1452_dim1_half_op_CI_CI
    .private_segment_fixed_size: 0
    .sgpr_count:     30
    .sgpr_spill_count: 0
    .symbol:         bluestein_single_back_len1452_dim1_half_op_CI_CI.kd
    .uniform_work_group_size: 1
    .uses_dynamic_stack: false
    .vgpr_count:     91
    .vgpr_spill_count: 0
    .wavefront_size: 64
amdhsa.target:   amdgcn-amd-amdhsa--gfx906
amdhsa.version:
  - 1
  - 2
...

	.end_amdgpu_metadata
